;; amdgpu-corpus repo=ROCm/rocFFT kind=compiled arch=gfx950 opt=O3
	.text
	.amdgcn_target "amdgcn-amd-amdhsa--gfx950"
	.amdhsa_code_object_version 6
	.protected	bluestein_single_fwd_len250_dim1_sp_op_CI_CI ; -- Begin function bluestein_single_fwd_len250_dim1_sp_op_CI_CI
	.globl	bluestein_single_fwd_len250_dim1_sp_op_CI_CI
	.p2align	8
	.type	bluestein_single_fwd_len250_dim1_sp_op_CI_CI,@function
bluestein_single_fwd_len250_dim1_sp_op_CI_CI: ; @bluestein_single_fwd_len250_dim1_sp_op_CI_CI
; %bb.0:
	s_load_dwordx4 s[16:19], s[0:1], 0x28
	v_mul_u32_u24_e32 v1, 0xa3e, v0
	v_lshrrev_b32_e32 v2, 16, v1
	v_mad_u64_u32 v[36:37], s[2:3], s2, 5, v[2:3]
	v_mov_b32_e32 v37, 0
	s_waitcnt lgkmcnt(0)
	v_cmp_gt_u64_e32 vcc, s[16:17], v[36:37]
	s_and_saveexec_b64 s[2:3], vcc
	s_cbranch_execz .LBB0_2
; %bb.1:
	s_load_dwordx4 s[4:7], s[0:1], 0x18
	s_load_dwordx4 s[8:11], s[0:1], 0x0
	v_mul_lo_u16_e32 v1, 25, v2
	v_sub_u16_e32 v40, v0, v1
	v_mov_b32_e32 v4, s18
	s_waitcnt lgkmcnt(0)
	s_load_dwordx4 s[12:15], s[4:5], 0x0
	v_mov_b32_e32 v5, s19
	v_mov_b32_e32 v37, 0xc8
	v_lshlrev_b32_e32 v59, 3, v40
	s_mov_b32 s16, 0xbf737871
	s_waitcnt lgkmcnt(0)
	v_mad_u64_u32 v[0:1], s[2:3], s14, v36, 0
	v_mov_b32_e32 v2, v1
	v_mad_u64_u32 v[2:3], s[2:3], s15, v36, v[2:3]
	v_mov_b32_e32 v1, v2
	v_mad_u64_u32 v[2:3], s[2:3], s12, v40, 0
	v_mov_b32_e32 v6, v3
	v_mad_u64_u32 v[6:7], s[2:3], s13, v40, v[6:7]
	v_mov_b32_e32 v3, v6
	v_lshl_add_u64 v[0:1], v[0:1], 3, v[4:5]
	v_lshl_add_u64 v[0:1], v[2:3], 3, v[0:1]
	global_load_dwordx2 v[2:3], v[0:1], off
	v_mad_u64_u32 v[0:1], s[2:3], s12, v37, v[0:1]
	s_mul_i32 s4, s13, 0xc8
	v_add_u32_e32 v1, s4, v1
	global_load_dwordx2 v[4:5], v[0:1], off
	global_load_dwordx2 v[54:55], v59, s[8:9]
	v_mad_u64_u32 v[0:1], s[2:3], s12, v37, v[0:1]
	v_add_u32_e32 v1, s4, v1
	v_mad_u64_u32 v[6:7], s[2:3], s12, v37, v[0:1]
	v_add_u32_e32 v7, s4, v7
	global_load_dwordx2 v[52:53], v59, s[8:9] offset:200
	global_load_dwordx2 v[50:51], v59, s[8:9] offset:400
	;; [unrolled: 1-line block ×3, first 2 shown]
	global_load_dwordx2 v[8:9], v[0:1], off
	v_mad_u64_u32 v[0:1], s[2:3], s12, v37, v[6:7]
	v_add_u32_e32 v1, s4, v1
	global_load_dwordx2 v[10:11], v[6:7], off
	global_load_dwordx2 v[12:13], v[0:1], off
	v_mad_u64_u32 v[0:1], s[2:3], s12, v37, v[0:1]
	v_add_u32_e32 v1, s4, v1
	global_load_dwordx2 v[48:49], v59, s[8:9] offset:800
	global_load_dwordx2 v[6:7], v[0:1], off
	v_mad_u64_u32 v[0:1], s[2:3], s12, v37, v[0:1]
	v_add_u32_e32 v1, s4, v1
	global_load_dwordx2 v[14:15], v[0:1], off
	v_mad_u64_u32 v[0:1], s[2:3], s12, v37, v[0:1]
	global_load_dwordx2 v[46:47], v59, s[8:9] offset:1000
	global_load_dwordx2 v[42:43], v59, s[8:9] offset:1200
	v_add_u32_e32 v1, s4, v1
	global_load_dwordx2 v[16:17], v[0:1], off
	global_load_dwordx2 v[38:39], v59, s[8:9] offset:1400
	v_mad_u64_u32 v[0:1], s[2:3], s12, v37, v[0:1]
	v_add_u32_e32 v1, s4, v1
	global_load_dwordx2 v[20:21], v[0:1], off
	global_load_dwordx2 v[34:35], v59, s[8:9] offset:1600
	v_mad_u64_u32 v[0:1], s[2:3], s12, v37, v[0:1]
	v_add_u32_e32 v1, s4, v1
	global_load_dwordx2 v[32:33], v59, s[8:9] offset:1800
	global_load_dwordx2 v[22:23], v[0:1], off
	s_mov_b32 s2, 0xcccccccd
	v_mul_hi_u32 v0, v36, s2
	v_lshrrev_b32_e32 v0, 2, v0
	v_lshl_add_u32 v0, v0, 2, v0
	v_sub_u32_e32 v0, v36, v0
	v_mul_u32_u24_e32 v0, 0xfa, v0
	v_lshlrev_b32_e32 v18, 3, v0
	v_add_u32_e32 v57, v59, v18
	s_load_dwordx4 s[4:7], s[6:7], 0x0
	s_mov_b32 s12, 0x3f737871
	s_mov_b32 s14, 0x3f167918
	;; [unrolled: 1-line block ×6, first 2 shown]
	s_load_dwordx2 s[0:1], s[0:1], 0x38
	s_waitcnt vmcnt(17)
	v_mul_f32_e32 v0, v3, v55
	v_mul_f32_e32 v1, v2, v55
	v_fmac_f32_e32 v0, v2, v54
	v_fma_f32 v1, v3, v54, -v1
	s_waitcnt vmcnt(16)
	v_mul_f32_e32 v2, v5, v53
	v_mul_f32_e32 v3, v4, v53
	v_fmac_f32_e32 v2, v4, v52
	v_fma_f32 v3, v5, v52, -v3
	ds_write2_b64 v57, v[0:1], v[2:3] offset1:25
	s_waitcnt vmcnt(13)
	v_mul_f32_e32 v0, v9, v51
	v_mul_f32_e32 v1, v8, v51
	s_waitcnt vmcnt(12)
	v_mul_f32_e32 v2, v11, v45
	v_mul_f32_e32 v3, v10, v45
	v_fmac_f32_e32 v0, v8, v50
	v_fma_f32 v1, v9, v50, -v1
	v_fmac_f32_e32 v2, v10, v44
	v_fma_f32 v3, v11, v44, -v3
	ds_write2_b64 v57, v[0:1], v[2:3] offset0:50 offset1:75
	s_waitcnt vmcnt(10)
	v_mul_f32_e32 v0, v13, v49
	v_mul_f32_e32 v1, v12, v49
	s_waitcnt vmcnt(7)
	v_mul_f32_e32 v2, v7, v47
	v_mul_f32_e32 v3, v6, v47
	v_fmac_f32_e32 v0, v12, v48
	v_fma_f32 v1, v13, v48, -v1
	v_fmac_f32_e32 v2, v6, v46
	v_fma_f32 v3, v7, v46, -v3
	ds_write2_b64 v57, v[0:1], v[2:3] offset0:100 offset1:125
	;; [unrolled: 11-line block ×4, first 2 shown]
	s_waitcnt lgkmcnt(0)
	s_barrier
	ds_read2_b64 v[0:3], v57 offset1:25
	ds_read2_b64 v[4:7], v57 offset0:50 offset1:75
	ds_read2_b64 v[8:11], v57 offset0:200 offset1:225
	ds_read2_b64 v[12:15], v57 offset0:100 offset1:125
	ds_read2_b64 v[20:23], v57 offset0:150 offset1:175
	s_waitcnt lgkmcnt(0)
	v_pk_add_f32 v[16:17], v[0:1], v[4:5]
	v_pk_add_f32 v[24:25], v[2:3], v[6:7]
	;; [unrolled: 1-line block ×4, first 2 shown]
	v_pk_add_f32 v[26:27], v[4:5], v[8:9] neg_lo:[0,1] neg_hi:[0,1]
	v_pk_add_f32 v[28:29], v[4:5], v[12:13] neg_lo:[0,1] neg_hi:[0,1]
	;; [unrolled: 1-line block ×3, first 2 shown]
	v_pk_add_f32 v[62:63], v[6:7], v[10:11]
	v_pk_add_f32 v[64:65], v[14:15], v[6:7] neg_lo:[0,1] neg_hi:[0,1]
	v_pk_add_f32 v[6:7], v[6:7], v[14:15] neg_lo:[0,1] neg_hi:[0,1]
	v_pk_add_f32 v[66:67], v[12:13], v[20:21]
	v_pk_add_f32 v[68:69], v[14:15], v[22:23] neg_lo:[0,1] neg_hi:[0,1]
	v_pk_add_f32 v[14:15], v[14:15], v[22:23]
	v_pk_add_f32 v[16:17], v[16:17], v[20:21]
	;; [unrolled: 1-line block ×3, first 2 shown]
	v_pk_add_f32 v[70:71], v[8:9], v[20:21] neg_lo:[0,1] neg_hi:[0,1]
	v_pk_add_f32 v[30:31], v[4:5], v[8:9]
	v_pk_add_f32 v[4:5], v[12:13], v[4:5] neg_lo:[0,1] neg_hi:[0,1]
	v_pk_add_f32 v[12:13], v[12:13], v[20:21] neg_lo:[0,1] neg_hi:[0,1]
	;; [unrolled: 1-line block ×5, first 2 shown]
	v_pk_add_f32 v[8:9], v[16:17], v[8:9]
	v_pk_add_f32 v[10:11], v[24:25], v[10:11]
	v_pk_fma_f32 v[16:17], v[66:67], 0.5, v[0:1] op_sel_hi:[1,0,1] neg_lo:[1,0,0] neg_hi:[1,0,0]
	v_pk_fma_f32 v[24:25], v[62:63], 0.5, v[2:3] op_sel_hi:[1,0,1] neg_lo:[1,0,0] neg_hi:[1,0,0]
	;; [unrolled: 1-line block ×3, first 2 shown]
	v_pk_add_f32 v[14:15], v[28:29], v[70:71]
	v_pk_mul_f32 v[28:29], v[26:27], s[12:13] op_sel_hi:[1,0]
	v_pk_fma_f32 v[0:1], v[30:31], 0.5, v[0:1] op_sel_hi:[1,0,1] neg_lo:[1,0,0] neg_hi:[1,0,0]
	v_pk_add_f32 v[30:31], v[16:17], v[28:29] op_sel:[0,1] op_sel_hi:[1,0]
	v_pk_add_f32 v[16:17], v[16:17], v[28:29] op_sel:[0,1] op_sel_hi:[1,0] neg_lo:[0,1] neg_hi:[0,1]
	v_pk_mul_f32 v[28:29], v[12:13], s[14:15] op_sel_hi:[1,0]
	v_pk_add_f32 v[4:5], v[4:5], v[20:21]
	v_pk_mul_f32 v[20:21], v[68:69], s[12:13] op_sel_hi:[1,0]
	v_pk_add_f32 v[62:63], v[16:17], v[28:29] op_sel:[0,1] op_sel_hi:[1,0] neg_lo:[0,1] neg_hi:[0,1]
	v_pk_add_f32 v[28:29], v[30:31], v[28:29] op_sel:[0,1] op_sel_hi:[1,0]
	v_pk_add_f32 v[30:31], v[24:25], v[20:21] op_sel:[0,1] op_sel_hi:[1,0] neg_lo:[0,1] neg_hi:[0,1]
	v_pk_add_f32 v[20:21], v[24:25], v[20:21] op_sel:[0,1] op_sel_hi:[1,0]
	v_pk_mul_f32 v[24:25], v[60:61], s[14:15] op_sel_hi:[1,0]
	v_pk_add_f32 v[16:17], v[64:65], v[72:73]
	v_pk_add_f32 v[20:21], v[20:21], v[24:25] op_sel:[0,1] op_sel_hi:[1,0] neg_lo:[0,1] neg_hi:[0,1]
	v_pk_add_f32 v[24:25], v[30:31], v[24:25] op_sel:[0,1] op_sel_hi:[1,0]
	v_mov_b32_e32 v31, v21
	v_mov_b32_e32 v30, v24
	v_pk_fma_f32 v[30:31], v[16:17], s[2:3], v[30:31] op_sel_hi:[1,0,1]
	v_pk_mul_f32 v[12:13], v[12:13], s[12:13] op_sel_hi:[1,0]
	v_pk_mul_f32 v[64:65], v[30:31], s[12:13] op_sel_hi:[1,0]
	v_mov_b32_e32 v21, v25
	v_pk_fma_f32 v[66:67], v[30:31], s[2:3], v[64:65] op_sel:[0,0,1] op_sel_hi:[1,0,0]
	v_pk_fma_f32 v[30:31], v[30:31], s[2:3], v[64:65] op_sel:[0,0,1] op_sel_hi:[1,0,0] neg_lo:[0,0,1] neg_hi:[0,0,1]
	s_mov_b32 s3, 0
	v_mov_b32_e32 v67, v31
	v_pk_add_f32 v[30:31], v[0:1], v[12:13] op_sel:[0,1] op_sel_hi:[1,0] neg_lo:[0,1] neg_hi:[0,1]
	v_pk_add_f32 v[0:1], v[0:1], v[12:13] op_sel:[0,1] op_sel_hi:[1,0]
	v_pk_mul_f32 v[12:13], v[26:27], s[14:15] op_sel_hi:[1,0]
	v_pk_fma_f32 v[16:17], v[16:17], s[2:3], v[20:21] op_sel_hi:[1,0,1]
	v_pk_add_f32 v[0:1], v[0:1], v[12:13] op_sel:[0,1] op_sel_hi:[1,0] neg_lo:[0,1] neg_hi:[0,1]
	v_pk_add_f32 v[12:13], v[30:31], v[12:13] op_sel:[0,1] op_sel_hi:[1,0]
	v_mov_b32_e32 v25, v1
	v_mov_b32_e32 v24, v12
	;; [unrolled: 1-line block ×4, first 2 shown]
	v_pk_mul_f32 v[20:21], v[16:17], s[2:3] op_sel_hi:[1,0]
	v_pk_fma_f32 v[12:13], v[4:5], s[2:3], v[24:25] op_sel_hi:[1,0,1]
	v_pk_fma_f32 v[24:25], v[4:5], s[2:3], v[0:1] op_sel_hi:[1,0,1]
	v_mul_lo_u16_e32 v0, 10, v40
	v_pk_fma_f32 v[20:21], v[16:17], s[16:17], v[20:21] op_sel:[0,0,1] op_sel_hi:[1,1,0] neg_lo:[0,0,1] neg_hi:[0,0,1]
	v_lshl_add_u64 v[16:17], v[40:41], 0, 25
	v_lshl_add_u32 v41, v0, 3, v18
	v_mov_b32_e32 v0, v28
	v_mov_b32_e32 v1, v63
	v_pk_add_f32 v[4:5], v[6:7], v[22:23]
	v_pk_fma_f32 v[22:23], v[14:15], s[2:3], v[0:1] op_sel_hi:[1,0,1]
	v_pk_mul_f32 v[0:1], v[60:61], s[12:13] op_sel_hi:[1,0]
	v_pk_mul_f32 v[26:27], v[68:69], s[14:15] op_sel_hi:[1,0]
	v_pk_add_f32 v[6:7], v[2:3], v[0:1] op_sel:[0,1] op_sel_hi:[1,0]
	v_pk_add_f32 v[2:3], v[2:3], v[0:1] op_sel:[0,1] op_sel_hi:[1,0] neg_lo:[0,1] neg_hi:[0,1]
	v_pk_add_f32 v[6:7], v[26:27], v[6:7] op_sel:[1,0] op_sel_hi:[0,1]
	v_pk_add_f32 v[2:3], v[2:3], v[26:27] op_sel:[0,1] op_sel_hi:[1,0] neg_lo:[0,1] neg_hi:[0,1]
	s_mov_b32 s16, 0x3f4f1bbd
	v_pk_fma_f32 v[26:27], v[4:5], s[2:3], v[2:3] op_sel_hi:[1,0,1]
	v_mov_b32_e32 v3, v7
	v_pk_fma_f32 v[2:3], v[4:5], s[2:3], v[2:3] op_sel_hi:[1,0,1]
	v_pk_fma_f32 v[6:7], v[4:5], s[2:3], v[6:7] op_sel_hi:[1,0,1]
	v_pk_mul_f32 v[4:5], v[2:3], s[16:17] op_sel_hi:[1,0]
	s_mov_b32 s17, s14
	v_mov_b32_e32 v63, v29
	v_pk_fma_f32 v[28:29], v[2:3], s[18:19], v[4:5] op_sel:[0,0,1] op_sel_hi:[1,1,0] neg_lo:[0,0,1] neg_hi:[0,0,1]
	v_pk_mul_f32 v[2:3], v[6:7], s[16:17] op_sel_hi:[0,1]
	s_mov_b32 s15, s16
	v_pk_fma_f32 v[30:31], v[26:27], s[14:15], v[2:3] op_sel:[1,0,0]
	v_pk_fma_f32 v[2:3], v[26:27], s[14:15], v[2:3] op_sel:[1,0,0] neg_lo:[0,0,1] neg_hi:[0,0,1]
	v_pk_fma_f32 v[14:15], v[14:15], s[2:3], v[62:63] op_sel_hi:[1,0,1]
	v_mov_b32_e32 v31, v3
	v_pk_add_f32 v[0:1], v[8:9], v[10:11]
	v_pk_add_f32 v[2:3], v[22:23], v[30:31]
	v_pk_add_f32 v[26:27], v[14:15], v[28:29] op_sel:[1,0] op_sel_hi:[0,1]
	s_barrier
	v_pk_add_f32 v[4:5], v[12:13], v[66:67]
	v_pk_add_f32 v[6:7], v[24:25], v[20:21] op_sel:[0,1] op_sel_hi:[1,0]
	ds_write_b128 v41, v[0:3]
	v_pk_add_f32 v[2:3], v[8:9], v[10:11] neg_lo:[0,1] neg_hi:[0,1]
	v_mov_b32_e32 v0, v27
	v_mov_b32_e32 v1, v26
	ds_write_b128 v41, v[4:7] offset:16
	ds_write_b128 v41, v[0:3] offset:32
	v_pk_add_f32 v[0:1], v[22:23], v[30:31] neg_lo:[0,1] neg_hi:[0,1]
	v_pk_add_f32 v[2:3], v[12:13], v[66:67] neg_lo:[0,1] neg_hi:[0,1]
	v_pk_add_f32 v[4:5], v[14:15], v[28:29] op_sel:[1,0] op_sel_hi:[0,1] neg_lo:[0,1] neg_hi:[0,1]
	ds_write_b128 v41, v[0:3] offset:48
	v_pk_add_f32 v[0:1], v[24:25], v[20:21] op_sel:[0,1] op_sel_hi:[1,0] neg_lo:[0,1] neg_hi:[0,1]
	v_mov_b32_e32 v2, v5
	v_mov_b32_e32 v3, v4
	s_movk_i32 s3, 0xcd
	ds_write_b128 v41, v[0:3] offset:64
	v_mul_lo_u16_sdwa v0, v40, s3 dst_sel:DWORD dst_unused:UNUSED_PAD src0_sel:BYTE_0 src1_sel:DWORD
	v_lshrrev_b16_e32 v17, 11, v0
	v_mul_lo_u16_e32 v0, 10, v17
	v_sub_u16_e32 v19, v40, v0
	v_mul_lo_u16_sdwa v0, v16, s3 dst_sel:DWORD dst_unused:UNUSED_PAD src0_sel:BYTE_0 src1_sel:DWORD
	v_lshrrev_b16_e32 v63, 11, v0
	v_mul_lo_u16_e32 v0, 10, v63
	v_sub_u16_e32 v94, v16, v0
	v_mov_b32_e32 v0, 5
	v_lshlrev_b32_sdwa v20, v0, v94 dst_sel:DWORD dst_unused:UNUSED_PAD src0_sel:DWORD src1_sel:BYTE_0
	s_waitcnt lgkmcnt(0)
	s_barrier
	global_load_dwordx4 v[4:7], v20, s[10:11]
	v_lshlrev_b16_e32 v0, 2, v19
	v_and_b32_e32 v0, 0xfc, v0
	v_lshlrev_b32_e32 v21, 3, v0
	global_load_dwordx4 v[0:3], v21, s[10:11]
	global_load_dwordx4 v[12:15], v20, s[10:11] offset:16
	global_load_dwordx4 v[8:11], v21, s[10:11] offset:16
	ds_read2_b64 v[20:23], v57 offset0:50 offset1:75
	s_waitcnt vmcnt(3) lgkmcnt(0)
	v_pk_mul_f32 v[24:25], v[22:23], v[4:5] op_sel:[0,1]
	s_nop 0
	v_pk_fma_f32 v[28:29], v[22:23], v[4:5], v[24:25] op_sel:[0,0,1] op_sel_hi:[1,1,0] neg_lo:[0,0,1] neg_hi:[0,0,1]
	v_pk_fma_f32 v[30:31], v[22:23], v[4:5], v[24:25] op_sel:[0,0,1] op_sel_hi:[1,0,0]
	ds_read2_b64 v[22:25], v57 offset0:100 offset1:125
	s_waitcnt vmcnt(2)
	v_pk_mul_f32 v[26:27], v[20:21], v[0:1] op_sel:[0,1]
	v_mov_b32_e32 v62, v7
	v_pk_fma_f32 v[64:65], v[20:21], v[0:1], v[26:27] op_sel:[0,0,1] op_sel_hi:[1,1,0] neg_lo:[0,0,1] neg_hi:[0,0,1]
	v_pk_fma_f32 v[60:61], v[20:21], v[0:1], v[26:27] op_sel:[0,0,1] op_sel_hi:[1,0,0]
	s_waitcnt lgkmcnt(0)
	v_pk_mul_f32 v[20:21], v[24:25], v[62:63] op_sel_hi:[1,0]
	v_mov_b32_e32 v56, v3
	v_pk_fma_f32 v[66:67], v[24:25], v[6:7], v[20:21] op_sel:[0,0,1] op_sel_hi:[1,1,0] neg_lo:[0,0,1] neg_hi:[0,0,1]
	v_pk_fma_f32 v[68:69], v[24:25], v[6:7], v[20:21] op_sel:[0,0,1] op_sel_hi:[1,0,0]
	ds_read2_b64 v[24:27], v57 offset0:150 offset1:175
	v_pk_mul_f32 v[20:21], v[22:23], v[56:57] op_sel_hi:[1,0]
	s_waitcnt vmcnt(1)
	v_mov_b32_e32 v60, v15
	v_pk_fma_f32 v[70:71], v[22:23], v[2:3], v[20:21] op_sel:[0,0,1] op_sel_hi:[1,1,0] neg_lo:[0,0,1] neg_hi:[0,0,1]
	v_pk_fma_f32 v[72:73], v[22:23], v[2:3], v[20:21] op_sel:[0,0,1] op_sel_hi:[1,0,0]
	s_waitcnt lgkmcnt(0)
	v_pk_mul_f32 v[20:21], v[26:27], v[12:13] op_sel:[0,1]
	s_waitcnt vmcnt(0)
	v_pk_mul_f32 v[76:77], v[24:25], v[8:9] op_sel:[0,1]
	v_pk_fma_f32 v[74:75], v[26:27], v[12:13], v[20:21] op_sel:[0,0,1] op_sel_hi:[1,1,0] neg_lo:[0,0,1] neg_hi:[0,0,1]
	v_pk_fma_f32 v[26:27], v[26:27], v[12:13], v[20:21] op_sel:[0,0,1] op_sel_hi:[1,0,0]
	ds_read2_b64 v[20:23], v57 offset0:200 offset1:225
	v_pk_fma_f32 v[78:79], v[24:25], v[8:9], v[76:77] op_sel:[0,0,1] op_sel_hi:[1,1,0] neg_lo:[0,0,1] neg_hi:[0,0,1]
	v_pk_fma_f32 v[24:25], v[24:25], v[8:9], v[76:77] op_sel:[0,0,1] op_sel_hi:[1,0,0]
	v_mov_b32_e32 v58, v11
	v_mov_b32_e32 v65, v61
	s_waitcnt lgkmcnt(0)
	v_pk_mul_f32 v[76:77], v[22:23], v[60:61] op_sel_hi:[1,0]
	v_mov_b32_e32 v71, v73
	v_pk_fma_f32 v[80:81], v[22:23], v[14:15], v[76:77] op_sel:[0,0,1] op_sel_hi:[1,1,0] neg_lo:[0,0,1] neg_hi:[0,0,1]
	v_pk_fma_f32 v[76:77], v[22:23], v[14:15], v[76:77] op_sel:[0,0,1] op_sel_hi:[1,0,0]
	v_pk_mul_f32 v[22:23], v[20:21], v[58:59] op_sel_hi:[1,0]
	v_mov_b32_e32 v79, v25
	v_pk_fma_f32 v[82:83], v[20:21], v[10:11], v[22:23] op_sel:[0,0,1] op_sel_hi:[1,1,0] neg_lo:[0,0,1] neg_hi:[0,0,1]
	v_pk_fma_f32 v[20:21], v[20:21], v[10:11], v[22:23] op_sel:[0,0,1] op_sel_hi:[1,0,0]
	v_pk_add_f32 v[24:25], v[64:65], v[70:71] neg_lo:[0,1] neg_hi:[0,1]
	v_mov_b32_e32 v83, v21
	ds_read2_b64 v[20:23], v57 offset1:25
	v_pk_add_f32 v[72:73], v[82:83], v[78:79] neg_lo:[0,1] neg_hi:[0,1]
	v_pk_add_f32 v[84:85], v[64:65], v[82:83] neg_lo:[0,1] neg_hi:[0,1]
	v_pk_add_f32 v[24:25], v[24:25], v[72:73]
	v_pk_add_f32 v[72:73], v[70:71], v[78:79]
	v_pk_mul_f32 v[86:87], v[84:85], s[12:13] op_sel_hi:[1,0]
	s_waitcnt lgkmcnt(0)
	v_pk_fma_f32 v[72:73], v[72:73], 0.5, v[20:21] op_sel_hi:[1,0,1] neg_lo:[1,0,0] neg_hi:[1,0,0]
	v_mad_legacy_u16 v7, v17, 50, v19
	v_pk_add_f32 v[88:89], v[72:73], v[86:87] op_sel:[0,1] op_sel_hi:[1,0]
	v_pk_add_f32 v[72:73], v[72:73], v[86:87] op_sel:[0,1] op_sel_hi:[1,0] neg_lo:[0,1] neg_hi:[0,1]
	v_pk_add_f32 v[86:87], v[70:71], v[78:79] neg_lo:[0,1] neg_hi:[0,1]
	v_and_b32_e32 v7, 0xff, v7
	v_pk_mul_f32 v[90:91], v[86:87], s[14:15] op_sel_hi:[1,0]
	v_lshl_add_u32 v7, v7, 3, v18
	v_pk_add_f32 v[72:73], v[72:73], v[90:91] op_sel:[0,1] op_sel_hi:[1,0] neg_lo:[0,1] neg_hi:[0,1]
	v_pk_add_f32 v[88:89], v[88:89], v[90:91] op_sel:[0,1] op_sel_hi:[1,0]
	v_pk_add_f32 v[90:91], v[20:21], v[64:65]
	v_mov_b32_e32 v93, v73
	v_pk_add_f32 v[90:91], v[90:91], v[70:71]
	v_pk_add_f32 v[70:71], v[70:71], v[64:65] neg_lo:[0,1] neg_hi:[0,1]
	v_pk_add_f32 v[64:65], v[64:65], v[82:83]
	v_pk_add_f32 v[90:91], v[90:91], v[78:79]
	v_pk_add_f32 v[78:79], v[78:79], v[82:83] neg_lo:[0,1] neg_hi:[0,1]
	v_pk_fma_f32 v[20:21], v[64:65], 0.5, v[20:21] op_sel_hi:[1,0,1] neg_lo:[1,0,0] neg_hi:[1,0,0]
	v_pk_mul_f32 v[64:65], v[86:87], s[12:13] op_sel_hi:[1,0]
	v_pk_add_f32 v[70:71], v[70:71], v[78:79]
	v_pk_add_f32 v[78:79], v[20:21], v[64:65] op_sel:[0,1] op_sel_hi:[1,0] neg_lo:[0,1] neg_hi:[0,1]
	v_pk_add_f32 v[20:21], v[20:21], v[64:65] op_sel:[0,1] op_sel_hi:[1,0]
	v_pk_mul_f32 v[64:65], v[84:85], s[14:15] op_sel_hi:[1,0]
	v_mov_b32_e32 v73, v89
	v_pk_add_f32 v[20:21], v[20:21], v[64:65] op_sel:[0,1] op_sel_hi:[1,0] neg_lo:[0,1] neg_hi:[0,1]
	v_pk_add_f32 v[64:65], v[78:79], v[64:65] op_sel:[0,1] op_sel_hi:[1,0]
	v_mov_b32_e32 v79, v21
	v_mov_b32_e32 v78, v64
	;; [unrolled: 1-line block ×3, first 2 shown]
	v_pk_fma_f32 v[64:65], v[70:71], s[2:3], v[78:79] op_sel_hi:[1,0,1]
	v_pk_fma_f32 v[20:21], v[70:71], s[2:3], v[20:21] op_sel_hi:[1,0,1]
	s_barrier
	v_mov_b32_e32 v92, v88
	ds_write2_b64 v7, v[64:65], v[20:21] offset0:20 offset1:30
	v_mov_b32_e32 v29, v31
	v_mov_b32_e32 v67, v69
	;; [unrolled: 1-line block ×4, first 2 shown]
	v_pk_fma_f32 v[20:21], v[24:25], s[2:3], v[72:73] op_sel_hi:[1,0,1]
	v_pk_fma_f32 v[92:93], v[24:25], s[2:3], v[92:93] op_sel_hi:[1,0,1]
	ds_write_b64 v7, v[20:21] offset:320
	v_pk_add_f32 v[20:21], v[28:29], v[66:67] neg_lo:[0,1] neg_hi:[0,1]
	v_pk_add_f32 v[24:25], v[80:81], v[74:75] neg_lo:[0,1] neg_hi:[0,1]
	;; [unrolled: 1-line block ×3, first 2 shown]
	v_pk_add_f32 v[20:21], v[20:21], v[24:25]
	v_pk_add_f32 v[24:25], v[66:67], v[74:75]
	v_pk_mul_f32 v[30:31], v[26:27], s[12:13] op_sel_hi:[1,0]
	v_pk_fma_f32 v[24:25], v[24:25], 0.5, v[22:23] op_sel_hi:[1,0,1] neg_lo:[1,0,0] neg_hi:[1,0,0]
	v_mul_u32_u24_e32 v17, 50, v63
	v_pk_add_f32 v[64:65], v[24:25], v[30:31] op_sel:[0,1] op_sel_hi:[1,0]
	v_pk_add_f32 v[24:25], v[24:25], v[30:31] op_sel:[0,1] op_sel_hi:[1,0] neg_lo:[0,1] neg_hi:[0,1]
	v_pk_add_f32 v[30:31], v[66:67], v[74:75] neg_lo:[0,1] neg_hi:[0,1]
	v_add_u32_sdwa v17, v17, v94 dst_sel:DWORD dst_unused:UNUSED_PAD src0_sel:DWORD src1_sel:BYTE_0
	v_pk_mul_f32 v[68:69], v[30:31], s[14:15] op_sel_hi:[1,0]
	v_lshl_add_u32 v61, v17, 3, v18
	v_pk_add_f32 v[18:19], v[22:23], v[28:29]
	v_pk_add_f32 v[24:25], v[24:25], v[68:69] op_sel:[0,1] op_sel_hi:[1,0] neg_lo:[0,1] neg_hi:[0,1]
	v_pk_add_f32 v[64:65], v[64:65], v[68:69] op_sel:[0,1] op_sel_hi:[1,0]
	v_pk_add_f32 v[18:19], v[18:19], v[66:67]
	v_mov_b32_e32 v68, v64
	v_pk_add_f32 v[18:19], v[18:19], v[74:75]
	v_mov_b32_e32 v69, v25
	v_pk_add_f32 v[90:91], v[90:91], v[82:83]
	v_pk_add_f32 v[18:19], v[18:19], v[80:81]
	v_pk_fma_f32 v[68:69], v[20:21], s[2:3], v[68:69] op_sel_hi:[1,0,1]
	ds_write2_b64 v7, v[90:91], v[92:93] offset1:10
	ds_write2_b64 v61, v[18:19], v[68:69] offset1:10
	v_pk_add_f32 v[18:19], v[28:29], v[80:81]
	v_pk_mul_f32 v[26:27], v[26:27], s[14:15] op_sel_hi:[1,0]
	v_pk_fma_f32 v[18:19], v[18:19], 0.5, v[22:23] op_sel_hi:[1,0,1] neg_lo:[1,0,0] neg_hi:[1,0,0]
	v_pk_add_f32 v[22:23], v[66:67], v[28:29] neg_lo:[0,1] neg_hi:[0,1]
	v_pk_add_f32 v[28:29], v[74:75], v[80:81] neg_lo:[0,1] neg_hi:[0,1]
	v_mov_b32_e32 v25, v65
	v_pk_add_f32 v[22:23], v[22:23], v[28:29]
	v_pk_mul_f32 v[28:29], v[30:31], s[12:13] op_sel_hi:[1,0]
	v_lshlrev_b32_e32 v63, 5, v40
	v_pk_add_f32 v[30:31], v[18:19], v[28:29] op_sel:[0,1] op_sel_hi:[1,0] neg_lo:[0,1] neg_hi:[0,1]
	v_pk_add_f32 v[18:19], v[18:19], v[28:29] op_sel:[0,1] op_sel_hi:[1,0]
	v_lshlrev_b32_e32 v64, 5, v16
	v_pk_add_f32 v[18:19], v[18:19], v[26:27] op_sel:[0,1] op_sel_hi:[1,0] neg_lo:[0,1] neg_hi:[0,1]
	v_pk_add_f32 v[26:27], v[30:31], v[26:27] op_sel:[0,1] op_sel_hi:[1,0]
	v_mov_b32_e32 v29, v19
	v_mov_b32_e32 v28, v26
	;; [unrolled: 1-line block ×3, first 2 shown]
	v_pk_fma_f32 v[26:27], v[22:23], s[2:3], v[28:29] op_sel_hi:[1,0,1]
	v_pk_fma_f32 v[18:19], v[22:23], s[2:3], v[18:19] op_sel_hi:[1,0,1]
	ds_write2_b64 v61, v[26:27], v[18:19] offset0:20 offset1:30
	v_pk_fma_f32 v[18:19], v[20:21], s[2:3], v[24:25] op_sel_hi:[1,0,1]
	ds_write_b64 v61, v[18:19] offset:320
	s_waitcnt lgkmcnt(0)
	s_barrier
	global_load_dwordx4 v[20:23], v63, s[10:11] offset:320
	global_load_dwordx4 v[16:19], v64, s[10:11] offset:320
	;; [unrolled: 1-line block ×4, first 2 shown]
	ds_read2_b64 v[64:67], v57 offset0:50 offset1:75
	ds_read2_b64 v[72:75], v57 offset0:100 offset1:125
	;; [unrolled: 1-line block ×3, first 2 shown]
	s_waitcnt vmcnt(3) lgkmcnt(2)
	v_pk_mul_f32 v[68:69], v[64:65], v[20:21] op_sel:[0,1]
	s_nop 0
	v_pk_fma_f32 v[80:81], v[64:65], v[20:21], v[68:69] op_sel:[0,0,1] op_sel_hi:[1,1,0] neg_lo:[0,0,1] neg_hi:[0,0,1]
	v_pk_fma_f32 v[64:65], v[64:65], v[20:21], v[68:69] op_sel:[0,0,1] op_sel_hi:[1,0,0]
	s_waitcnt vmcnt(2)
	v_pk_mul_f32 v[68:69], v[66:67], v[16:17] op_sel:[0,1]
	v_mov_b32_e32 v70, v23
	v_pk_fma_f32 v[82:83], v[66:67], v[16:17], v[68:69] op_sel:[0,0,1] op_sel_hi:[1,1,0] neg_lo:[0,0,1] neg_hi:[0,0,1]
	v_pk_fma_f32 v[66:67], v[66:67], v[16:17], v[68:69] op_sel:[0,0,1] op_sel_hi:[1,0,0]
	s_waitcnt lgkmcnt(1)
	v_pk_mul_f32 v[68:69], v[72:73], v[70:71] op_sel_hi:[1,0]
	v_mov_b32_e32 v66, v19
	v_pk_fma_f32 v[84:85], v[72:73], v[22:23], v[68:69] op_sel:[0,0,1] op_sel_hi:[1,1,0] neg_lo:[0,0,1] neg_hi:[0,0,1]
	v_pk_fma_f32 v[68:69], v[72:73], v[22:23], v[68:69] op_sel:[0,0,1] op_sel_hi:[1,0,0]
	v_pk_mul_f32 v[72:73], v[74:75], v[66:67] op_sel_hi:[1,0]
	s_waitcnt vmcnt(0) lgkmcnt(0)
	v_pk_mul_f32 v[92:93], v[78:79], v[24:25] op_sel:[0,1]
	v_pk_fma_f32 v[86:87], v[74:75], v[18:19], v[72:73] op_sel:[0,0,1] op_sel_hi:[1,1,0] neg_lo:[0,0,1] neg_hi:[0,0,1]
	v_pk_fma_f32 v[88:89], v[74:75], v[18:19], v[72:73] op_sel:[0,0,1] op_sel_hi:[1,0,0]
	v_pk_mul_f32 v[72:73], v[76:77], v[28:29] op_sel:[0,1]
	v_mov_b32_e32 v68, v31
	v_pk_fma_f32 v[90:91], v[76:77], v[28:29], v[72:73] op_sel:[0,0,1] op_sel_hi:[1,1,0] neg_lo:[0,0,1] neg_hi:[0,0,1]
	v_pk_fma_f32 v[76:77], v[76:77], v[28:29], v[72:73] op_sel:[0,0,1] op_sel_hi:[1,0,0]
	ds_read2_b64 v[72:75], v57 offset0:200 offset1:225
	v_pk_fma_f32 v[94:95], v[78:79], v[24:25], v[92:93] op_sel:[0,0,1] op_sel_hi:[1,1,0] neg_lo:[0,0,1] neg_hi:[0,0,1]
	v_pk_fma_f32 v[78:79], v[78:79], v[24:25], v[92:93] op_sel:[0,0,1] op_sel_hi:[1,0,0]
	v_mov_b32_e32 v64, v27
	v_mov_b32_e32 v81, v65
	s_waitcnt lgkmcnt(0)
	v_pk_mul_f32 v[92:93], v[72:73], v[68:69] op_sel_hi:[1,0]
	v_mov_b32_e32 v85, v69
	v_pk_fma_f32 v[96:97], v[72:73], v[30:31], v[92:93] op_sel:[0,0,1] op_sel_hi:[1,1,0] neg_lo:[0,0,1] neg_hi:[0,0,1]
	v_pk_fma_f32 v[72:73], v[72:73], v[30:31], v[92:93] op_sel:[0,0,1] op_sel_hi:[1,0,0]
	v_pk_mul_f32 v[92:93], v[74:75], v[64:65] op_sel_hi:[1,0]
	v_mov_b32_e32 v97, v73
	v_pk_fma_f32 v[98:99], v[74:75], v[26:27], v[92:93] op_sel:[0,0,1] op_sel_hi:[1,1,0] neg_lo:[0,0,1] neg_hi:[0,0,1]
	v_pk_fma_f32 v[74:75], v[74:75], v[26:27], v[92:93] op_sel:[0,0,1] op_sel_hi:[1,0,0]
	v_mov_b32_e32 v91, v77
	v_mov_b32_e32 v99, v75
	ds_read2_b64 v[72:75], v57 offset1:25
	v_mov_b32_e32 v95, v79
	v_pk_add_f32 v[76:77], v[80:81], v[84:85] neg_lo:[0,1] neg_hi:[0,1]
	v_pk_add_f32 v[78:79], v[96:97], v[90:91] neg_lo:[0,1] neg_hi:[0,1]
	v_mov_b32_e32 v87, v89
	v_pk_add_f32 v[76:77], v[76:77], v[78:79]
	v_pk_add_f32 v[78:79], v[84:85], v[90:91]
	v_pk_add_f32 v[88:89], v[80:81], v[96:97] neg_lo:[0,1] neg_hi:[0,1]
	s_waitcnt lgkmcnt(0)
	v_pk_fma_f32 v[78:79], v[78:79], 0.5, v[72:73] op_sel_hi:[1,0,1] neg_lo:[1,0,0] neg_hi:[1,0,0]
	v_pk_mul_f32 v[92:93], v[88:89], s[12:13] op_sel_hi:[1,0]
	v_mov_b32_e32 v83, v67
	v_pk_add_f32 v[100:101], v[78:79], v[92:93] op_sel:[0,1] op_sel_hi:[1,0]
	v_pk_add_f32 v[78:79], v[78:79], v[92:93] op_sel:[0,1] op_sel_hi:[1,0] neg_lo:[0,1] neg_hi:[0,1]
	v_pk_add_f32 v[92:93], v[84:85], v[90:91] neg_lo:[0,1] neg_hi:[0,1]
	s_nop 0
	v_pk_mul_f32 v[102:103], v[92:93], s[14:15] op_sel_hi:[1,0]
	s_nop 0
	v_pk_add_f32 v[78:79], v[78:79], v[102:103] op_sel:[0,1] op_sel_hi:[1,0] neg_lo:[0,1] neg_hi:[0,1]
	v_pk_add_f32 v[100:101], v[100:101], v[102:103] op_sel:[0,1] op_sel_hi:[1,0]
	v_mov_b32_e32 v103, v79
	v_mov_b32_e32 v102, v100
	v_pk_fma_f32 v[102:103], v[76:77], s[2:3], v[102:103] op_sel_hi:[1,0,1]
	ds_write_b64 v57, v[102:103] offset:400
	v_pk_add_f32 v[102:103], v[72:73], v[80:81]
	v_mov_b32_e32 v79, v101
	v_pk_add_f32 v[102:103], v[102:103], v[84:85]
	v_pk_add_f32 v[84:85], v[84:85], v[80:81] neg_lo:[0,1] neg_hi:[0,1]
	v_pk_add_f32 v[80:81], v[80:81], v[96:97]
	v_pk_add_f32 v[102:103], v[102:103], v[90:91]
	v_pk_add_f32 v[90:91], v[90:91], v[96:97] neg_lo:[0,1] neg_hi:[0,1]
	v_pk_fma_f32 v[72:73], v[80:81], 0.5, v[72:73] op_sel_hi:[1,0,1] neg_lo:[1,0,0] neg_hi:[1,0,0]
	v_pk_mul_f32 v[80:81], v[92:93], s[12:13] op_sel_hi:[1,0]
	v_pk_add_f32 v[84:85], v[84:85], v[90:91]
	v_pk_add_f32 v[90:91], v[72:73], v[80:81] op_sel:[0,1] op_sel_hi:[1,0] neg_lo:[0,1] neg_hi:[0,1]
	v_pk_add_f32 v[72:73], v[72:73], v[80:81] op_sel:[0,1] op_sel_hi:[1,0]
	v_pk_mul_f32 v[80:81], v[88:89], s[14:15] op_sel_hi:[1,0]
	v_pk_add_f32 v[102:103], v[102:103], v[96:97]
	v_pk_add_f32 v[72:73], v[72:73], v[80:81] op_sel:[0,1] op_sel_hi:[1,0] neg_lo:[0,1] neg_hi:[0,1]
	v_pk_add_f32 v[80:81], v[90:91], v[80:81] op_sel:[0,1] op_sel_hi:[1,0]
	v_mov_b32_e32 v89, v73
	v_mov_b32_e32 v73, v81
	v_pk_fma_f32 v[72:73], v[84:85], s[2:3], v[72:73] op_sel_hi:[1,0,1]
	ds_write_b64 v57, v[72:73] offset:1200
	v_pk_fma_f32 v[72:73], v[76:77], s[2:3], v[78:79] op_sel_hi:[1,0,1]
	ds_write_b64 v57, v[72:73] offset:1600
	v_pk_add_f32 v[72:73], v[74:75], v[82:83]
	v_mov_b32_e32 v88, v80
	v_pk_add_f32 v[72:73], v[72:73], v[86:87]
	v_pk_fma_f32 v[88:89], v[84:85], s[2:3], v[88:89] op_sel_hi:[1,0,1]
	v_pk_add_f32 v[72:73], v[72:73], v[94:95]
	ds_write_b64 v57, v[88:89] offset:800
	v_pk_add_f32 v[72:73], v[72:73], v[98:99]
	ds_write2_b64 v57, v[102:103], v[72:73] offset1:25
	v_pk_add_f32 v[72:73], v[86:87], v[94:95]
	v_pk_add_f32 v[76:77], v[82:83], v[98:99]
	v_pk_fma_f32 v[72:73], v[72:73], 0.5, v[74:75] op_sel_hi:[1,0,1] neg_lo:[1,0,0] neg_hi:[1,0,0]
	v_pk_fma_f32 v[74:75], v[76:77], 0.5, v[74:75] op_sel_hi:[1,0,1] neg_lo:[1,0,0] neg_hi:[1,0,0]
	v_pk_add_f32 v[76:77], v[82:83], v[86:87] neg_lo:[0,1] neg_hi:[0,1]
	v_pk_add_f32 v[78:79], v[98:99], v[94:95] neg_lo:[0,1] neg_hi:[0,1]
	s_nop 0
	v_pk_add_f32 v[76:77], v[76:77], v[78:79]
	v_pk_add_f32 v[78:79], v[82:83], v[98:99] neg_lo:[0,1] neg_hi:[0,1]
	v_pk_add_f32 v[82:83], v[86:87], v[82:83] neg_lo:[0,1] neg_hi:[0,1]
	v_pk_mul_f32 v[80:81], v[78:79], s[12:13] op_sel_hi:[1,0]
	v_pk_mul_f32 v[78:79], v[78:79], s[14:15] op_sel_hi:[1,0]
	v_pk_add_f32 v[84:85], v[72:73], v[80:81] op_sel:[0,1] op_sel_hi:[1,0]
	v_pk_add_f32 v[72:73], v[72:73], v[80:81] op_sel:[0,1] op_sel_hi:[1,0] neg_lo:[0,1] neg_hi:[0,1]
	v_pk_add_f32 v[80:81], v[86:87], v[94:95] neg_lo:[0,1] neg_hi:[0,1]
	v_pk_add_f32 v[86:87], v[94:95], v[98:99] neg_lo:[0,1] neg_hi:[0,1]
	v_pk_mul_f32 v[88:89], v[80:81], s[14:15] op_sel_hi:[1,0]
	v_pk_mul_f32 v[80:81], v[80:81], s[12:13] op_sel_hi:[1,0]
	v_pk_add_f32 v[82:83], v[82:83], v[86:87]
	v_pk_add_f32 v[86:87], v[74:75], v[80:81] op_sel:[0,1] op_sel_hi:[1,0] neg_lo:[0,1] neg_hi:[0,1]
	v_pk_add_f32 v[74:75], v[74:75], v[80:81] op_sel:[0,1] op_sel_hi:[1,0]
	v_pk_add_f32 v[72:73], v[72:73], v[88:89] op_sel:[0,1] op_sel_hi:[1,0] neg_lo:[0,1] neg_hi:[0,1]
	v_pk_add_f32 v[84:85], v[84:85], v[88:89] op_sel:[0,1] op_sel_hi:[1,0]
	;; [unrolled: 2-line block ×3, first 2 shown]
	v_mov_b32_e32 v88, v84
	v_mov_b32_e32 v89, v73
	;; [unrolled: 1-line block ×6, first 2 shown]
	v_pk_fma_f32 v[88:89], v[76:77], s[2:3], v[88:89] op_sel_hi:[1,0,1]
	v_pk_fma_f32 v[80:81], v[82:83], s[2:3], v[80:81] op_sel_hi:[1,0,1]
	;; [unrolled: 1-line block ×4, first 2 shown]
	ds_write_b64 v57, v[88:89] offset:600
	ds_write_b64 v57, v[80:81] offset:1000
	;; [unrolled: 1-line block ×4, first 2 shown]
	s_waitcnt lgkmcnt(0)
	s_barrier
	global_load_dwordx2 v[76:77], v59, s[8:9] offset:2000
	s_add_u32 s8, s8, 0x7d0
	s_addc_u32 s9, s9, 0
	global_load_dwordx2 v[80:81], v59, s[8:9] offset:200
	global_load_dwordx2 v[82:83], v59, s[8:9] offset:400
	;; [unrolled: 1-line block ×9, first 2 shown]
	ds_read2_b64 v[72:75], v57 offset1:25
	s_mov_b32 s8, 0xbe9e377a
	s_mov_b32 s9, s12
	s_waitcnt vmcnt(8) lgkmcnt(0)
	v_mul_f32_e32 v101, v74, v81
	v_fmac_f32_e32 v101, v75, v80
	v_mul_f32_e32 v23, v73, v77
	v_mul_f32_e32 v99, v72, v77
	v_fma_f32 v98, v72, v76, -v23
	v_fmac_f32_e32 v99, v73, v76
	ds_read2_b64 v[76:79], v57 offset0:50 offset1:75
	v_mul_f32_e32 v23, v75, v81
	v_fma_f32 v100, v74, v80, -v23
	ds_read2_b64 v[72:75], v57 offset0:100 offset1:125
	s_waitcnt vmcnt(7) lgkmcnt(1)
	v_mul_f32_e32 v23, v77, v83
	v_fma_f32 v80, v76, v82, -v23
	v_mul_f32_e32 v81, v76, v83
	s_waitcnt vmcnt(6)
	v_mul_f32_e32 v23, v79, v85
	v_mul_f32_e32 v83, v78, v85
	v_fmac_f32_e32 v81, v77, v82
	v_fma_f32 v82, v78, v84, -v23
	v_fmac_f32_e32 v83, v79, v84
	s_waitcnt vmcnt(5) lgkmcnt(0)
	v_mul_f32_e32 v23, v73, v87
	ds_read2_b64 v[76:79], v57 offset0:150 offset1:175
	v_fma_f32 v84, v72, v86, -v23
	v_mul_f32_e32 v85, v72, v87
	s_waitcnt vmcnt(4)
	v_mul_f32_e32 v23, v75, v89
	v_mul_f32_e32 v87, v74, v89
	v_fmac_f32_e32 v85, v73, v86
	v_fma_f32 v86, v74, v88, -v23
	v_fmac_f32_e32 v87, v75, v88
	ds_read2_b64 v[72:75], v57 offset0:200 offset1:225
	s_waitcnt vmcnt(3) lgkmcnt(1)
	v_mul_f32_e32 v23, v77, v91
	v_mul_f32_e32 v89, v76, v91
	v_fma_f32 v88, v76, v90, -v23
	v_fmac_f32_e32 v89, v77, v90
	s_waitcnt vmcnt(2)
	v_mul_f32_e32 v23, v79, v93
	v_mul_f32_e32 v77, v78, v93
	v_fma_f32 v76, v78, v92, -v23
	v_fmac_f32_e32 v77, v79, v92
	s_waitcnt vmcnt(1) lgkmcnt(0)
	v_mul_f32_e32 v23, v73, v95
	v_mul_f32_e32 v79, v72, v95
	v_fma_f32 v78, v72, v94, -v23
	v_fmac_f32_e32 v79, v73, v94
	s_waitcnt vmcnt(0)
	v_mul_f32_e32 v23, v75, v97
	v_mul_f32_e32 v73, v74, v97
	v_fma_f32 v72, v74, v96, -v23
	v_fmac_f32_e32 v73, v75, v96
	ds_write2_b64 v57, v[98:99], v[100:101] offset1:25
	ds_write2_b64 v57, v[80:81], v[82:83] offset0:50 offset1:75
	ds_write2_b64 v57, v[84:85], v[86:87] offset0:100 offset1:125
	;; [unrolled: 1-line block ×4, first 2 shown]
	s_waitcnt lgkmcnt(0)
	s_barrier
	ds_read2_b64 v[72:75], v57 offset1:25
	ds_read2_b64 v[76:79], v57 offset0:50 offset1:75
	ds_read2_b64 v[80:83], v57 offset0:100 offset1:125
	s_waitcnt lgkmcnt(1)
	v_pk_add_f32 v[84:85], v[72:73], v[76:77]
	v_pk_add_f32 v[88:89], v[74:75], v[78:79]
	s_waitcnt lgkmcnt(0)
	v_pk_add_f32 v[92:93], v[84:85], v[80:81]
	ds_read2_b64 v[84:87], v57 offset0:150 offset1:175
	v_pk_add_f32 v[94:95], v[88:89], v[82:83]
	ds_read2_b64 v[88:91], v57 offset0:200 offset1:225
	v_mov_b32_e32 v96, v82
	v_mov_b32_e32 v98, v83
	s_waitcnt lgkmcnt(1)
	v_pk_add_f32 v[100:101], v[80:81], v[84:85]
	v_pk_add_f32 v[102:103], v[80:81], v[84:85] neg_lo:[0,1] neg_hi:[0,1]
	v_pk_add_f32 v[104:105], v[76:77], v[80:81] neg_lo:[0,1] neg_hi:[0,1]
	v_pk_add_f32 v[106:107], v[82:83], v[86:87]
	v_pk_add_f32 v[108:109], v[82:83], v[86:87] neg_lo:[0,1] neg_hi:[0,1]
	v_pk_add_f32 v[82:83], v[78:79], v[82:83] neg_lo:[0,1] neg_hi:[0,1]
	;; [unrolled: 1-line block ×3, first 2 shown]
	s_waitcnt lgkmcnt(0)
	v_pk_add_f32 v[110:111], v[78:79], v[90:91]
	v_mov_b32_e32 v112, v78
	v_mov_b32_e32 v114, v79
	v_pk_add_f32 v[116:117], v[76:77], v[88:89] neg_lo:[0,1] neg_hi:[0,1]
	v_pk_add_f32 v[118:119], v[78:79], v[90:91] neg_lo:[0,1] neg_hi:[0,1]
	v_pk_add_f32 v[120:121], v[76:77], v[88:89]
	v_pk_add_f32 v[76:77], v[92:93], v[84:85]
	;; [unrolled: 1-line block ×3, first 2 shown]
	v_pk_add_f32 v[92:93], v[88:89], v[84:85] neg_lo:[0,1] neg_hi:[0,1]
	v_pk_add_f32 v[84:85], v[84:85], v[88:89] neg_lo:[0,1] neg_hi:[0,1]
	v_pk_add_f32 v[88:89], v[76:77], v[88:89]
	v_pk_add_f32 v[94:95], v[78:79], v[90:91]
	v_pk_fma_f32 v[76:77], v[100:101], 0.5, v[72:73] op_sel_hi:[1,0,1] neg_lo:[1,0,0] neg_hi:[1,0,0]
	v_pk_mul_f32 v[78:79], v[116:117], s[12:13] op_sel_hi:[1,0]
	v_mov_b32_e32 v97, v86
	v_mov_b32_e32 v99, v87
	v_pk_add_f32 v[86:87], v[90:91], v[86:87] neg_lo:[0,1] neg_hi:[0,1]
	v_mov_b32_e32 v113, v90
	v_mov_b32_e32 v115, v91
	v_pk_add_f32 v[90:91], v[104:105], v[92:93]
	v_pk_add_f32 v[92:93], v[76:77], v[78:79] op_sel:[0,1] op_sel_hi:[1,0] neg_lo:[0,1] neg_hi:[0,1]
	v_pk_add_f32 v[76:77], v[76:77], v[78:79] op_sel:[0,1] op_sel_hi:[1,0]
	v_pk_mul_f32 v[78:79], v[102:103], s[14:15] op_sel_hi:[1,0]
	v_pk_add_f32 v[82:83], v[82:83], v[86:87]
	v_pk_add_f32 v[100:101], v[76:77], v[78:79] op_sel:[0,1] op_sel_hi:[1,0]
	v_pk_add_f32 v[92:93], v[92:93], v[78:79] op_sel:[0,1] op_sel_hi:[1,0] neg_lo:[0,1] neg_hi:[0,1]
	v_pk_fma_f32 v[76:77], v[106:107], 0.5, v[74:75] op_sel_hi:[1,0,1] neg_lo:[1,0,0] neg_hi:[1,0,0]
	v_pk_mul_f32 v[78:79], v[118:119], s[12:13] op_sel_hi:[1,0]
	v_fma_f32 v23, -0.5, v110, v74
	v_pk_add_f32 v[86:87], v[76:77], v[78:79] op_sel:[0,1] op_sel_hi:[1,0]
	v_pk_add_f32 v[76:77], v[76:77], v[78:79] op_sel:[0,1] op_sel_hi:[1,0] neg_lo:[0,1] neg_hi:[0,1]
	v_pk_mul_f32 v[78:79], v[108:109], s[14:15] op_sel_hi:[1,0]
	v_fma_f32 v59, -0.5, v111, v75
	v_pk_add_f32 v[86:87], v[78:79], v[86:87] op_sel:[1,0] op_sel_hi:[0,1]
	v_pk_add_f32 v[104:105], v[76:77], v[78:79] op_sel:[0,1] op_sel_hi:[1,0] neg_lo:[0,1] neg_hi:[0,1]
	v_mov_b32_e32 v76, v92
	v_mov_b32_e32 v77, v101
	v_pk_fma_f32 v[106:107], v[90:91], s[2:3], v[76:77] op_sel_hi:[1,0,1]
	v_pk_fma_f32 v[122:123], v[82:83], s[2:3], v[86:87] op_sel_hi:[1,0,1]
	s_mov_b32 s3, s14
	v_mov_b32_e32 v86, v104
	v_pk_fma_f32 v[76:77], v[82:83], s[2:3], v[86:87] op_sel_hi:[1,0,1]
	v_pk_add_f32 v[74:75], v[96:97], v[112:113] neg_lo:[0,1] neg_hi:[0,1]
	v_pk_mul_f32 v[78:79], v[76:77], s[14:15] op_sel_hi:[1,0]
	s_nop 0
	v_pk_fma_f32 v[86:87], v[76:77], s[16:17], v[78:79] op_sel:[0,0,1] op_sel_hi:[1,0,0] neg_lo:[0,0,1] neg_hi:[0,0,1]
	v_pk_fma_f32 v[76:77], v[76:77], s[16:17], v[78:79] op_sel:[0,0,1] op_sel_hi:[1,0,0]
	s_barrier
	v_mov_b32_e32 v87, v77
	v_pk_add_f32 v[76:77], v[88:89], v[94:95]
	v_pk_add_f32 v[78:79], v[106:107], v[86:87]
	ds_write_b128 v41, v[76:79]
	v_mov_b32_e32 v76, v75
	v_pk_add_f32 v[74:75], v[74:75], v[76:77]
	v_pk_add_f32 v[76:77], v[98:99], v[114:115] neg_lo:[0,1] neg_hi:[0,1]
	v_pk_fma_f32 v[72:73], v[120:121], 0.5, v[72:73] op_sel_hi:[1,0,1] neg_lo:[1,0,0] neg_hi:[1,0,0]
	v_mov_b32_e32 v78, v77
	v_pk_add_f32 v[76:77], v[76:77], v[78:79]
	v_pk_fma_f32 v[78:79], v[82:83], s[2:3], v[104:105] op_sel_hi:[1,0,1]
	v_mov_b32_e32 v77, v118
	v_pk_mul_f32 v[82:83], v[102:103], s[12:13] op_sel_hi:[1,0]
	v_mov_b32_e32 v75, v119
	v_fmamk_f32 v65, v108, 0xbf737871, v59
	v_pk_add_f32 v[80:81], v[80:81], v[84:85]
	v_pk_add_f32 v[84:85], v[72:73], v[82:83] op_sel:[0,1] op_sel_hi:[1,0]
	v_pk_add_f32 v[72:73], v[72:73], v[82:83] op_sel:[0,1] op_sel_hi:[1,0] neg_lo:[0,1] neg_hi:[0,1]
	v_pk_mul_f32 v[82:83], v[116:117], s[14:15] op_sel_hi:[1,0]
	v_pk_mul_f32 v[76:77], v[76:77], s[2:3]
	v_fmamk_f32 v63, v109, 0x3f737871, v23
	v_fmac_f32_e32 v23, 0xbf737871, v109
	v_pk_add_f32 v[72:73], v[72:73], v[82:83] op_sel:[0,1] op_sel_hi:[1,0]
	v_pk_add_f32 v[82:83], v[84:85], v[82:83] op_sel:[0,1] op_sel_hi:[1,0] neg_lo:[0,1] neg_hi:[0,1]
	v_pk_mul_f32 v[74:75], v[74:75], s[2:3]
	v_add_f32_e32 v65, v77, v65
	v_fmac_f32_e32 v59, 0x3f737871, v108
	v_sub_f32_e32 v63, v63, v75
	v_mov_b32_e32 v84, v82
	s_mov_b32 s13, s2
	v_add_f32_e32 v82, v76, v65
	v_add_f32_e32 v23, v75, v23
	v_mov_b32_e32 v85, v73
	v_pk_mul_f32 v[96:97], v[82:83], s[12:13] op_sel_hi:[0,1]
	v_add_f32_e32 v82, v74, v63
	v_add_f32_e32 v74, v74, v23
	v_sub_f32_e32 v23, v59, v77
	v_pk_fma_f32 v[84:85], v[80:81], s[2:3], v[84:85] op_sel_hi:[1,0,1]
	s_mov_b32 s3, s12
	v_add_f32_e32 v76, v76, v23
	v_pk_fma_f32 v[98:99], v[82:83], s[2:3], v[96:97] neg_lo:[0,0,1] neg_hi:[0,0,1]
	v_pk_fma_f32 v[96:97], v[82:83], s[2:3], v[96:97] op_sel_hi:[0,1,1]
	v_pk_mul_f32 v[76:77], v[76:77], s[12:13] op_sel_hi:[0,1]
	v_mov_b32_e32 v73, v83
	v_mov_b32_e32 v99, v97
	v_pk_fma_f32 v[76:77], v[74:75], s[8:9], v[76:77] op_sel_hi:[0,1,1] neg_lo:[0,0,1] neg_hi:[0,0,1]
	v_pk_fma_f32 v[80:81], v[80:81], s[2:3], v[72:73] op_sel_hi:[1,0,1]
	v_pk_add_f32 v[72:73], v[84:85], v[98:99]
	v_pk_add_f32 v[74:75], v[80:81], v[76:77]
	ds_write_b128 v41, v[72:75] offset:16
	v_mov_b32_e32 v101, v93
	s_mov_b32 s8, 0xbf4f1bbd
	s_mov_b32 s9, s14
	v_pk_mul_f32 v[72:73], v[78:79], s[14:15] op_sel:[1,0]
	v_pk_fma_f32 v[82:83], v[90:91], s[2:3], v[100:101] op_sel_hi:[1,0,1]
	v_pk_fma_f32 v[78:79], v[122:123], s[8:9], v[72:73] op_sel_hi:[0,1,1] neg_lo:[0,0,1] neg_hi:[0,0,1]
	v_pk_add_f32 v[74:75], v[88:89], v[94:95] neg_lo:[0,1] neg_hi:[0,1]
	v_pk_add_f32 v[72:73], v[82:83], v[78:79]
	ds_write_b128 v41, v[72:75] offset:32
	v_pk_add_f32 v[72:73], v[106:107], v[86:87] neg_lo:[0,1] neg_hi:[0,1]
	v_pk_add_f32 v[74:75], v[84:85], v[98:99] neg_lo:[0,1] neg_hi:[0,1]
	ds_write_b128 v41, v[72:75] offset:48
	v_pk_add_f32 v[72:73], v[80:81], v[76:77] neg_lo:[0,1] neg_hi:[0,1]
	v_pk_add_f32 v[74:75], v[82:83], v[78:79] neg_lo:[0,1] neg_hi:[0,1]
	ds_write_b128 v41, v[72:75] offset:64
	s_waitcnt lgkmcnt(0)
	s_barrier
	ds_read2_b64 v[72:75], v57 offset0:50 offset1:75
	ds_read2_b64 v[76:79], v57 offset0:100 offset1:125
	s_waitcnt lgkmcnt(1)
	v_pk_mul_f32 v[80:81], v[4:5], v[74:75] op_sel:[1,0]
	s_nop 0
	v_pk_fma_f32 v[82:83], v[4:5], v[74:75], v[80:81] op_sel:[0,0,1] op_sel_hi:[1,1,0]
	v_pk_fma_f32 v[4:5], v[4:5], v[74:75], v[80:81] op_sel:[0,0,1] op_sel_hi:[0,1,0] neg_lo:[0,0,1] neg_hi:[0,0,1]
	v_pk_mul_f32 v[74:75], v[0:1], v[72:73] op_sel:[1,0]
	s_waitcnt lgkmcnt(0)
	v_pk_mul_f32 v[62:63], v[62:63], v[78:79] op_sel_hi:[0,1]
	v_pk_fma_f32 v[86:87], v[0:1], v[72:73], v[74:75] op_sel:[0,0,1] op_sel_hi:[1,1,0]
	v_pk_fma_f32 v[0:1], v[0:1], v[72:73], v[74:75] op_sel:[0,0,1] op_sel_hi:[0,1,0] neg_lo:[0,0,1] neg_hi:[0,0,1]
	ds_read2_b64 v[72:75], v57 offset0:150 offset1:175
	v_pk_fma_f32 v[84:85], v[6:7], v[78:79], v[62:63] op_sel:[0,0,1] op_sel_hi:[1,1,0]
	v_pk_fma_f32 v[62:63], v[6:7], v[78:79], v[62:63] op_sel:[0,0,1] op_sel_hi:[0,1,0] neg_lo:[0,0,1] neg_hi:[0,0,1]
	ds_read2_b64 v[78:81], v57 offset0:200 offset1:225
	v_pk_mul_f32 v[88:89], v[56:57], v[76:77] op_sel_hi:[0,1]
	v_pk_fma_f32 v[90:91], v[2:3], v[76:77], v[88:89] op_sel:[0,0,1] op_sel_hi:[1,1,0]
	v_pk_fma_f32 v[2:3], v[2:3], v[76:77], v[88:89] op_sel:[0,0,1] op_sel_hi:[0,1,0] neg_lo:[0,0,1] neg_hi:[0,0,1]
	s_waitcnt lgkmcnt(1)
	v_pk_mul_f32 v[76:77], v[12:13], v[74:75] op_sel:[1,0]
	s_waitcnt lgkmcnt(0)
	v_pk_mul_f32 v[58:59], v[58:59], v[78:79] op_sel_hi:[0,1]
	v_pk_fma_f32 v[88:89], v[12:13], v[74:75], v[76:77] op_sel:[0,0,1] op_sel_hi:[1,1,0]
	v_pk_fma_f32 v[12:13], v[12:13], v[74:75], v[76:77] op_sel:[0,0,1] op_sel_hi:[0,1,0] neg_lo:[0,0,1] neg_hi:[0,0,1]
	v_pk_mul_f32 v[74:75], v[60:61], v[80:81] op_sel_hi:[0,1]
	v_pk_fma_f32 v[76:77], v[14:15], v[80:81], v[74:75] op_sel:[0,0,1] op_sel_hi:[1,1,0]
	v_pk_fma_f32 v[14:15], v[14:15], v[80:81], v[74:75] op_sel:[0,0,1] op_sel_hi:[0,1,0] neg_lo:[0,0,1] neg_hi:[0,0,1]
	v_pk_mul_f32 v[74:75], v[8:9], v[72:73] op_sel:[1,0]
	v_mov_b32_e32 v87, v1
	v_mov_b32_e32 v91, v3
	ds_read2_b64 v[0:3], v57 offset1:25
	v_pk_fma_f32 v[80:81], v[8:9], v[72:73], v[74:75] op_sel:[0,0,1] op_sel_hi:[1,1,0]
	v_pk_fma_f32 v[8:9], v[8:9], v[72:73], v[74:75] op_sel:[0,0,1] op_sel_hi:[0,1,0] neg_lo:[0,0,1] neg_hi:[0,0,1]
	v_pk_fma_f32 v[72:73], v[10:11], v[78:79], v[58:59] op_sel:[0,0,1] op_sel_hi:[1,1,0]
	v_pk_fma_f32 v[10:11], v[10:11], v[78:79], v[58:59] op_sel:[0,0,1] op_sel_hi:[0,1,0] neg_lo:[0,0,1] neg_hi:[0,0,1]
	v_mov_b32_e32 v81, v9
	v_mov_b32_e32 v73, v11
	v_pk_add_f32 v[8:9], v[86:87], v[90:91] neg_lo:[0,1] neg_hi:[0,1]
	v_pk_add_f32 v[10:11], v[72:73], v[80:81] neg_lo:[0,1] neg_hi:[0,1]
	;; [unrolled: 1-line block ×3, first 2 shown]
	v_pk_add_f32 v[8:9], v[8:9], v[10:11]
	v_pk_add_f32 v[10:11], v[90:91], v[80:81]
	v_pk_mul_f32 v[74:75], v[58:59], s[12:13] op_sel_hi:[1,0]
	s_waitcnt lgkmcnt(0)
	v_pk_fma_f32 v[10:11], v[10:11], 0.5, v[0:1] op_sel_hi:[1,0,1] neg_lo:[1,0,0] neg_hi:[1,0,0]
	v_pk_mul_f32 v[58:59], v[58:59], s[14:15] op_sel_hi:[1,0]
	v_pk_add_f32 v[78:79], v[10:11], v[74:75] op_sel:[0,1] op_sel_hi:[1,0] neg_lo:[0,1] neg_hi:[0,1]
	v_pk_add_f32 v[10:11], v[10:11], v[74:75] op_sel:[0,1] op_sel_hi:[1,0]
	v_pk_add_f32 v[74:75], v[90:91], v[80:81] neg_lo:[0,1] neg_hi:[0,1]
	s_nop 0
	v_pk_mul_f32 v[92:93], v[74:75], s[14:15] op_sel_hi:[1,0]
	v_pk_mul_f32 v[74:75], v[74:75], s[12:13] op_sel_hi:[1,0]
	v_pk_add_f32 v[10:11], v[10:11], v[92:93] op_sel:[0,1] op_sel_hi:[1,0]
	v_pk_add_f32 v[78:79], v[78:79], v[92:93] op_sel:[0,1] op_sel_hi:[1,0] neg_lo:[0,1] neg_hi:[0,1]
	v_pk_add_f32 v[92:93], v[0:1], v[86:87]
	v_mov_b32_e32 v95, v11
	v_pk_add_f32 v[92:93], v[92:93], v[90:91]
	v_pk_add_f32 v[90:91], v[90:91], v[86:87] neg_lo:[0,1] neg_hi:[0,1]
	v_pk_add_f32 v[86:87], v[86:87], v[72:73]
	v_pk_add_f32 v[92:93], v[92:93], v[80:81]
	v_pk_fma_f32 v[0:1], v[86:87], 0.5, v[0:1] op_sel_hi:[1,0,1] neg_lo:[1,0,0] neg_hi:[1,0,0]
	v_pk_add_f32 v[92:93], v[92:93], v[72:73]
	v_pk_add_f32 v[72:73], v[80:81], v[72:73] neg_lo:[0,1] neg_hi:[0,1]
	v_pk_add_f32 v[80:81], v[0:1], v[74:75] op_sel:[0,1] op_sel_hi:[1,0]
	v_pk_add_f32 v[0:1], v[0:1], v[74:75] op_sel:[0,1] op_sel_hi:[1,0] neg_lo:[0,1] neg_hi:[0,1]
	v_pk_add_f32 v[72:73], v[90:91], v[72:73]
	v_pk_add_f32 v[0:1], v[0:1], v[58:59] op_sel:[0,1] op_sel_hi:[1,0]
	v_pk_add_f32 v[58:59], v[80:81], v[58:59] op_sel:[0,1] op_sel_hi:[1,0] neg_lo:[0,1] neg_hi:[0,1]
	v_mov_b32_e32 v75, v1
	v_mov_b32_e32 v74, v58
	;; [unrolled: 1-line block ×3, first 2 shown]
	v_pk_fma_f32 v[58:59], v[72:73], s[2:3], v[74:75] op_sel_hi:[1,0,1]
	v_pk_fma_f32 v[0:1], v[72:73], s[2:3], v[0:1] op_sel_hi:[1,0,1]
	v_mov_b32_e32 v11, v79
	s_barrier
	v_mov_b32_e32 v94, v78
	ds_write2_b64 v7, v[58:59], v[0:1] offset0:20 offset1:30
	v_pk_fma_f32 v[0:1], v[8:9], s[2:3], v[10:11] op_sel_hi:[1,0,1]
	v_mov_b32_e32 v83, v5
	v_mov_b32_e32 v85, v63
	;; [unrolled: 1-line block ×4, first 2 shown]
	v_pk_fma_f32 v[94:95], v[8:9], s[2:3], v[94:95] op_sel_hi:[1,0,1]
	ds_write_b64 v7, v[0:1] offset:320
	v_pk_add_f32 v[0:1], v[82:83], v[84:85] neg_lo:[0,1] neg_hi:[0,1]
	v_pk_add_f32 v[4:5], v[76:77], v[88:89] neg_lo:[0,1] neg_hi:[0,1]
	ds_write2_b64 v7, v[92:93], v[94:95] offset1:10
	v_pk_add_f32 v[0:1], v[0:1], v[4:5]
	v_pk_add_f32 v[4:5], v[84:85], v[88:89]
	v_pk_add_f32 v[6:7], v[82:83], v[76:77] neg_lo:[0,1] neg_hi:[0,1]
	v_pk_fma_f32 v[4:5], v[4:5], 0.5, v[2:3] op_sel_hi:[1,0,1] neg_lo:[1,0,0] neg_hi:[1,0,0]
	v_pk_mul_f32 v[8:9], v[6:7], s[12:13] op_sel_hi:[1,0]
	v_pk_mul_f32 v[6:7], v[6:7], s[14:15] op_sel_hi:[1,0]
	v_pk_add_f32 v[10:11], v[4:5], v[8:9] op_sel:[0,1] op_sel_hi:[1,0] neg_lo:[0,1] neg_hi:[0,1]
	v_pk_add_f32 v[4:5], v[4:5], v[8:9] op_sel:[0,1] op_sel_hi:[1,0]
	v_pk_add_f32 v[8:9], v[84:85], v[88:89] neg_lo:[0,1] neg_hi:[0,1]
	s_nop 0
	v_pk_mul_f32 v[12:13], v[8:9], s[14:15] op_sel_hi:[1,0]
	v_pk_mul_f32 v[8:9], v[8:9], s[12:13] op_sel_hi:[1,0]
	v_pk_add_f32 v[4:5], v[4:5], v[12:13] op_sel:[0,1] op_sel_hi:[1,0]
	v_pk_add_f32 v[10:11], v[10:11], v[12:13] op_sel:[0,1] op_sel_hi:[1,0] neg_lo:[0,1] neg_hi:[0,1]
	v_pk_add_f32 v[12:13], v[2:3], v[82:83]
	v_mov_b32_e32 v14, v10
	v_pk_add_f32 v[12:13], v[12:13], v[84:85]
	v_mov_b32_e32 v15, v5
	v_pk_add_f32 v[12:13], v[12:13], v[88:89]
	v_pk_fma_f32 v[14:15], v[0:1], s[2:3], v[14:15] op_sel_hi:[1,0,1]
	v_pk_add_f32 v[12:13], v[12:13], v[76:77]
	ds_write2_b64 v61, v[12:13], v[14:15] offset1:10
	v_pk_add_f32 v[12:13], v[82:83], v[76:77]
	v_pk_add_f32 v[14:15], v[88:89], v[76:77] neg_lo:[0,1] neg_hi:[0,1]
	v_pk_fma_f32 v[2:3], v[12:13], 0.5, v[2:3] op_sel_hi:[1,0,1] neg_lo:[1,0,0] neg_hi:[1,0,0]
	v_pk_add_f32 v[12:13], v[84:85], v[82:83] neg_lo:[0,1] neg_hi:[0,1]
	v_mov_b32_e32 v5, v11
	v_pk_add_f32 v[12:13], v[12:13], v[14:15]
	v_pk_add_f32 v[14:15], v[2:3], v[8:9] op_sel:[0,1] op_sel_hi:[1,0]
	v_pk_add_f32 v[2:3], v[2:3], v[8:9] op_sel:[0,1] op_sel_hi:[1,0] neg_lo:[0,1] neg_hi:[0,1]
	v_pk_fma_f32 v[0:1], v[0:1], s[2:3], v[4:5] op_sel_hi:[1,0,1]
	v_pk_add_f32 v[2:3], v[2:3], v[6:7] op_sel:[0,1] op_sel_hi:[1,0]
	v_pk_add_f32 v[6:7], v[14:15], v[6:7] op_sel:[0,1] op_sel_hi:[1,0] neg_lo:[0,1] neg_hi:[0,1]
	v_mov_b32_e32 v9, v3
	v_mov_b32_e32 v8, v6
	;; [unrolled: 1-line block ×3, first 2 shown]
	v_pk_fma_f32 v[6:7], v[12:13], s[2:3], v[8:9] op_sel_hi:[1,0,1]
	v_pk_fma_f32 v[2:3], v[12:13], s[2:3], v[2:3] op_sel_hi:[1,0,1]
	ds_write2_b64 v61, v[6:7], v[2:3] offset0:20 offset1:30
	ds_write_b64 v61, v[0:1] offset:320
	s_waitcnt lgkmcnt(0)
	s_barrier
	ds_read2_b64 v[0:3], v57 offset0:50 offset1:75
	ds_read2_b64 v[4:7], v57 offset0:100 offset1:125
	s_waitcnt lgkmcnt(1)
	v_pk_mul_f32 v[8:9], v[20:21], v[0:1] op_sel:[1,0]
	s_nop 0
	v_pk_fma_f32 v[12:13], v[20:21], v[0:1], v[8:9] op_sel:[0,0,1] op_sel_hi:[1,1,0]
	v_pk_fma_f32 v[14:15], v[20:21], v[0:1], v[8:9] op_sel:[0,0,1] op_sel_hi:[0,1,0] neg_lo:[0,0,1] neg_hi:[0,0,1]
	s_waitcnt lgkmcnt(0)
	v_pk_mul_f32 v[0:1], v[70:71], v[4:5] op_sel_hi:[0,1]
	v_pk_fma_f32 v[20:21], v[22:23], v[4:5], v[0:1] op_sel:[0,0,1] op_sel_hi:[1,1,0]
	v_pk_fma_f32 v[4:5], v[22:23], v[4:5], v[0:1] op_sel:[0,0,1] op_sel_hi:[0,1,0] neg_lo:[0,0,1] neg_hi:[0,0,1]
	v_pk_mul_f32 v[0:1], v[16:17], v[2:3] op_sel:[1,0]
	ds_read2_b64 v[8:11], v57 offset0:200 offset1:225
	v_pk_fma_f32 v[22:23], v[16:17], v[2:3], v[0:1] op_sel:[0,0,1] op_sel_hi:[1,1,0]
	v_pk_fma_f32 v[16:17], v[16:17], v[2:3], v[0:1] op_sel:[0,0,1] op_sel_hi:[0,1,0] neg_lo:[0,0,1] neg_hi:[0,0,1]
	ds_read2_b64 v[0:3], v57 offset0:150 offset1:175
	v_pk_mul_f32 v[58:59], v[66:67], v[6:7] op_sel_hi:[0,1]
	v_pk_fma_f32 v[60:61], v[18:19], v[6:7], v[58:59] op_sel:[0,0,1] op_sel_hi:[1,1,0]
	v_pk_fma_f32 v[18:19], v[18:19], v[6:7], v[58:59] op_sel:[0,0,1] op_sel_hi:[0,1,0] neg_lo:[0,0,1] neg_hi:[0,0,1]
	v_mov_b32_e32 v21, v5
	s_waitcnt lgkmcnt(0)
	v_pk_mul_f32 v[6:7], v[28:29], v[0:1] op_sel:[1,0]
	v_mov_b32_e32 v13, v15
	v_pk_fma_f32 v[58:59], v[28:29], v[0:1], v[6:7] op_sel:[0,0,1] op_sel_hi:[1,1,0]
	v_pk_fma_f32 v[0:1], v[28:29], v[0:1], v[6:7] op_sel:[0,0,1] op_sel_hi:[0,1,0] neg_lo:[0,0,1] neg_hi:[0,0,1]
	v_pk_mul_f32 v[6:7], v[68:69], v[8:9] op_sel_hi:[0,1]
	v_pk_fma_f32 v[28:29], v[30:31], v[8:9], v[6:7] op_sel:[0,0,1] op_sel_hi:[1,1,0]
	v_pk_fma_f32 v[6:7], v[30:31], v[8:9], v[6:7] op_sel:[0,0,1] op_sel_hi:[0,1,0] neg_lo:[0,0,1] neg_hi:[0,0,1]
	v_mov_b32_e32 v59, v1
	v_mov_b32_e32 v29, v7
	ds_read2_b64 v[4:7], v57 offset1:25
	v_pk_mul_f32 v[0:1], v[24:25], v[2:3] op_sel:[1,0]
	v_mov_b32_e32 v23, v17
	v_pk_fma_f32 v[8:9], v[24:25], v[2:3], v[0:1] op_sel:[0,0,1] op_sel_hi:[1,1,0]
	v_pk_fma_f32 v[0:1], v[24:25], v[2:3], v[0:1] op_sel:[0,0,1] op_sel_hi:[0,1,0] neg_lo:[0,0,1] neg_hi:[0,0,1]
	v_mov_b32_e32 v9, v1
	v_pk_mul_f32 v[0:1], v[64:65], v[10:11] op_sel_hi:[0,1]
	v_pk_fma_f32 v[14:15], v[26:27], v[10:11], v[0:1] op_sel:[0,0,1] op_sel_hi:[1,1,0]
	v_pk_fma_f32 v[0:1], v[26:27], v[10:11], v[0:1] op_sel:[0,0,1] op_sel_hi:[0,1,0] neg_lo:[0,0,1] neg_hi:[0,0,1]
	v_mov_b32_e32 v15, v1
	v_pk_add_f32 v[0:1], v[20:21], v[58:59]
	v_pk_add_f32 v[10:11], v[12:13], v[28:29] neg_lo:[0,1] neg_hi:[0,1]
	v_mov_b32_e32 v61, v19
	s_waitcnt lgkmcnt(0)
	v_pk_fma_f32 v[0:1], v[0:1], 0.5, v[4:5] op_sel_hi:[1,0,1] neg_lo:[1,0,0] neg_hi:[1,0,0]
	v_pk_mul_f32 v[16:17], v[10:11], s[12:13] op_sel_hi:[1,0]
	v_pk_add_f32 v[18:19], v[20:21], v[58:59] neg_lo:[0,1] neg_hi:[0,1]
	v_pk_add_f32 v[24:25], v[12:13], v[20:21] neg_lo:[0,1] neg_hi:[0,1]
	v_pk_add_f32 v[26:27], v[28:29], v[58:59] neg_lo:[0,1] neg_hi:[0,1]
	v_pk_add_f32 v[2:3], v[4:5], v[12:13]
	v_pk_add_f32 v[24:25], v[24:25], v[26:27]
	v_pk_add_f32 v[26:27], v[0:1], v[16:17] op_sel:[0,1] op_sel_hi:[1,0] neg_lo:[0,1] neg_hi:[0,1]
	v_pk_add_f32 v[0:1], v[0:1], v[16:17] op_sel:[0,1] op_sel_hi:[1,0]
	v_pk_mul_f32 v[16:17], v[18:19], s[14:15] op_sel_hi:[1,0]
	v_pk_add_f32 v[2:3], v[2:3], v[20:21]
	v_pk_add_f32 v[0:1], v[0:1], v[16:17] op_sel:[0,1] op_sel_hi:[1,0]
	v_pk_add_f32 v[16:17], v[26:27], v[16:17] op_sel:[0,1] op_sel_hi:[1,0] neg_lo:[0,1] neg_hi:[0,1]
	v_pk_add_f32 v[26:27], v[6:7], v[22:23]
	v_pk_add_f32 v[2:3], v[2:3], v[58:59]
	;; [unrolled: 1-line block ×5, first 2 shown]
	v_pk_add_f32 v[20:21], v[20:21], v[12:13] neg_lo:[0,1] neg_hi:[0,1]
	v_pk_add_f32 v[26:27], v[26:27], v[14:15]
	ds_write2_b64 v57, v[2:3], v[26:27] offset1:25
	v_pk_add_f32 v[2:3], v[22:23], v[60:61] neg_lo:[0,1] neg_hi:[0,1]
	v_pk_add_f32 v[26:27], v[14:15], v[8:9] neg_lo:[0,1] neg_hi:[0,1]
	v_pk_add_f32 v[12:13], v[12:13], v[28:29]
	v_pk_add_f32 v[2:3], v[2:3], v[26:27]
	;; [unrolled: 1-line block ×3, first 2 shown]
	v_pk_add_f32 v[30:31], v[22:23], v[14:15] neg_lo:[0,1] neg_hi:[0,1]
	v_pk_fma_f32 v[4:5], v[12:13], 0.5, v[4:5] op_sel_hi:[1,0,1] neg_lo:[1,0,0] neg_hi:[1,0,0]
	v_pk_mul_f32 v[12:13], v[18:19], s[12:13] op_sel_hi:[1,0]
	v_pk_fma_f32 v[26:27], v[26:27], 0.5, v[6:7] op_sel_hi:[1,0,1] neg_lo:[1,0,0] neg_hi:[1,0,0]
	v_pk_mul_f32 v[62:63], v[30:31], s[12:13] op_sel_hi:[1,0]
	v_pk_add_f32 v[18:19], v[4:5], v[12:13] op_sel:[0,1] op_sel_hi:[1,0]
	v_pk_add_f32 v[4:5], v[4:5], v[12:13] op_sel:[0,1] op_sel_hi:[1,0] neg_lo:[0,1] neg_hi:[0,1]
	v_pk_mul_f32 v[10:11], v[10:11], s[14:15] op_sel_hi:[1,0]
	v_pk_add_f32 v[64:65], v[26:27], v[62:63] op_sel:[0,1] op_sel_hi:[1,0] neg_lo:[0,1] neg_hi:[0,1]
	v_pk_add_f32 v[26:27], v[26:27], v[62:63] op_sel:[0,1] op_sel_hi:[1,0]
	v_pk_add_f32 v[62:63], v[60:61], v[8:9] neg_lo:[0,1] neg_hi:[0,1]
	v_pk_add_f32 v[28:29], v[58:59], v[28:29] neg_lo:[0,1] neg_hi:[0,1]
	v_pk_add_f32 v[4:5], v[4:5], v[10:11] op_sel:[0,1] op_sel_hi:[1,0]
	v_pk_add_f32 v[10:11], v[18:19], v[10:11] op_sel:[0,1] op_sel_hi:[1,0] neg_lo:[0,1] neg_hi:[0,1]
	v_pk_add_f32 v[18:19], v[22:23], v[14:15]
	v_pk_add_f32 v[20:21], v[20:21], v[28:29]
	v_mov_b32_e32 v12, v10
	v_mov_b32_e32 v13, v5
	;; [unrolled: 1-line block ×3, first 2 shown]
	v_pk_fma_f32 v[6:7], v[18:19], 0.5, v[6:7] op_sel_hi:[1,0,1] neg_lo:[1,0,0] neg_hi:[1,0,0]
	v_pk_add_f32 v[18:19], v[60:61], v[22:23] neg_lo:[0,1] neg_hi:[0,1]
	v_pk_add_f32 v[8:9], v[8:9], v[14:15] neg_lo:[0,1] neg_hi:[0,1]
	v_pk_mul_f32 v[14:15], v[62:63], s[12:13] op_sel_hi:[1,0]
	v_pk_mul_f32 v[66:67], v[62:63], s[14:15] op_sel_hi:[1,0]
	v_pk_fma_f32 v[10:11], v[20:21], s[2:3], v[12:13] op_sel_hi:[1,0,1]
	v_pk_fma_f32 v[4:5], v[20:21], s[2:3], v[4:5] op_sel_hi:[1,0,1]
	v_pk_add_f32 v[8:9], v[18:19], v[8:9]
	v_pk_mul_f32 v[18:19], v[30:31], s[14:15] op_sel_hi:[1,0]
	v_pk_add_f32 v[20:21], v[6:7], v[14:15] op_sel:[0,1] op_sel_hi:[1,0]
	v_pk_add_f32 v[6:7], v[6:7], v[14:15] op_sel:[0,1] op_sel_hi:[1,0] neg_lo:[0,1] neg_hi:[0,1]
	v_pk_add_f32 v[26:27], v[26:27], v[66:67] op_sel:[0,1] op_sel_hi:[1,0]
	v_pk_add_f32 v[64:65], v[64:65], v[66:67] op_sel:[0,1] op_sel_hi:[1,0] neg_lo:[0,1] neg_hi:[0,1]
	;; [unrolled: 2-line block ×3, first 2 shown]
	v_mov_b32_e32 v66, v16
	v_mov_b32_e32 v67, v1
	;; [unrolled: 1-line block ×9, first 2 shown]
	v_pk_fma_f32 v[66:67], v[24:25], s[2:3], v[66:67] op_sel_hi:[1,0,1]
	v_pk_fma_f32 v[68:69], v[2:3], s[2:3], v[68:69] op_sel_hi:[1,0,1]
	;; [unrolled: 1-line block ×6, first 2 shown]
	ds_write2_b64 v57, v[66:67], v[68:69] offset0:50 offset1:75
	ds_write2_b64 v57, v[10:11], v[18:19] offset0:100 offset1:125
	;; [unrolled: 1-line block ×4, first 2 shown]
	s_waitcnt lgkmcnt(0)
	s_barrier
	ds_read2_b64 v[0:3], v57 offset1:25
	v_mov_b32_e32 v12, s0
	v_mov_b32_e32 v13, s1
	v_mad_u64_u32 v[16:17], s[0:1], s6, v36, 0
	v_mov_b32_e32 v4, v17
	v_mad_u64_u32 v[4:5], s[0:1], s7, v36, v[4:5]
	v_mov_b32_e32 v17, v4
	s_waitcnt lgkmcnt(0)
	v_mul_f32_e32 v4, v55, v1
	v_fmac_f32_e32 v4, v54, v0
	v_mul_f32_e32 v0, v55, v0
	s_mov_b32 s0, 0xd2f1a9fc
	v_fma_f32 v0, v54, v1, -v0
	v_cvt_f64_f32_e32 v[4:5], v4
	s_mov_b32 s1, 0x3f70624d
	v_cvt_f64_f32_e32 v[0:1], v0
	v_mul_f64 v[4:5], v[4:5], s[0:1]
	v_mul_f64 v[0:1], v[0:1], s[0:1]
	v_cvt_f32_f64_e32 v4, v[4:5]
	v_cvt_f32_f64_e32 v5, v[0:1]
	v_mad_u64_u32 v[0:1], s[2:3], s4, v40, 0
	v_mov_b32_e32 v6, v1
	v_mad_u64_u32 v[6:7], s[2:3], s5, v40, v[6:7]
	v_mov_b32_e32 v1, v6
	v_lshl_add_u64 v[6:7], v[16:17], 3, v[12:13]
	v_lshl_add_u64 v[6:7], v[0:1], 3, v[6:7]
	v_mul_f32_e32 v0, v53, v3
	v_fmac_f32_e32 v0, v52, v2
	v_cvt_f64_f32_e32 v[0:1], v0
	v_mul_f64 v[0:1], v[0:1], s[0:1]
	global_store_dwordx2 v[6:7], v[4:5], off
	v_cvt_f32_f64_e32 v4, v[0:1]
	v_mul_f32_e32 v0, v53, v2
	v_fma_f32 v0, v52, v3, -v0
	v_cvt_f64_f32_e32 v[0:1], v0
	v_mul_f64 v[0:1], v[0:1], s[0:1]
	v_cvt_f32_f64_e32 v5, v[0:1]
	ds_read2_b64 v[0:3], v57 offset0:50 offset1:75
	v_mad_u64_u32 v[6:7], s[2:3], s4, v37, v[6:7]
	s_mulk_i32 s5, 0xc8
	v_add_u32_e32 v7, s5, v7
	global_store_dwordx2 v[6:7], v[4:5], off
	s_waitcnt lgkmcnt(0)
	v_mul_f32_e32 v4, v51, v1
	v_fmac_f32_e32 v4, v50, v0
	v_mul_f32_e32 v0, v51, v0
	v_fma_f32 v0, v50, v1, -v0
	v_cvt_f64_f32_e32 v[4:5], v4
	v_cvt_f64_f32_e32 v[0:1], v0
	v_mul_f64 v[4:5], v[4:5], s[0:1]
	v_mul_f64 v[0:1], v[0:1], s[0:1]
	v_cvt_f32_f64_e32 v4, v[4:5]
	v_cvt_f32_f64_e32 v5, v[0:1]
	v_mul_f32_e32 v0, v45, v3
	v_fmac_f32_e32 v0, v44, v2
	v_mad_u64_u32 v[6:7], s[2:3], s4, v37, v[6:7]
	v_cvt_f64_f32_e32 v[0:1], v0
	v_add_u32_e32 v7, s5, v7
	v_mul_f64 v[0:1], v[0:1], s[0:1]
	global_store_dwordx2 v[6:7], v[4:5], off
	v_cvt_f32_f64_e32 v4, v[0:1]
	v_mul_f32_e32 v0, v45, v2
	v_fma_f32 v0, v44, v3, -v0
	v_cvt_f64_f32_e32 v[0:1], v0
	v_mul_f64 v[0:1], v[0:1], s[0:1]
	v_cvt_f32_f64_e32 v5, v[0:1]
	ds_read2_b64 v[0:3], v57 offset0:100 offset1:125
	v_mad_u64_u32 v[6:7], s[2:3], s4, v37, v[6:7]
	v_add_u32_e32 v7, s5, v7
	global_store_dwordx2 v[6:7], v[4:5], off
	s_waitcnt lgkmcnt(0)
	v_mul_f32_e32 v4, v49, v1
	v_fmac_f32_e32 v4, v48, v0
	v_mul_f32_e32 v0, v49, v0
	v_fma_f32 v0, v48, v1, -v0
	v_cvt_f64_f32_e32 v[4:5], v4
	v_cvt_f64_f32_e32 v[0:1], v0
	v_mul_f64 v[4:5], v[4:5], s[0:1]
	v_mul_f64 v[0:1], v[0:1], s[0:1]
	v_cvt_f32_f64_e32 v4, v[4:5]
	v_cvt_f32_f64_e32 v5, v[0:1]
	v_mul_f32_e32 v0, v47, v3
	v_fmac_f32_e32 v0, v46, v2
	v_mad_u64_u32 v[6:7], s[2:3], s4, v37, v[6:7]
	v_cvt_f64_f32_e32 v[0:1], v0
	v_add_u32_e32 v7, s5, v7
	v_mul_f64 v[0:1], v[0:1], s[0:1]
	global_store_dwordx2 v[6:7], v[4:5], off
	v_cvt_f32_f64_e32 v4, v[0:1]
	v_mul_f32_e32 v0, v47, v2
	v_fma_f32 v0, v46, v3, -v0
	v_cvt_f64_f32_e32 v[0:1], v0
	v_mul_f64 v[0:1], v[0:1], s[0:1]
	v_cvt_f32_f64_e32 v5, v[0:1]
	ds_read2_b64 v[0:3], v57 offset0:150 offset1:175
	v_mad_u64_u32 v[6:7], s[2:3], s4, v37, v[6:7]
	;; [unrolled: 28-line block ×3, first 2 shown]
	v_add_u32_e32 v7, s5, v7
	global_store_dwordx2 v[6:7], v[4:5], off
	s_waitcnt lgkmcnt(0)
	v_mul_f32_e32 v4, v35, v1
	v_fmac_f32_e32 v4, v34, v0
	v_mul_f32_e32 v0, v35, v0
	v_fma_f32 v0, v34, v1, -v0
	v_cvt_f64_f32_e32 v[4:5], v4
	v_cvt_f64_f32_e32 v[0:1], v0
	v_mul_f64 v[4:5], v[4:5], s[0:1]
	v_mul_f64 v[0:1], v[0:1], s[0:1]
	v_cvt_f32_f64_e32 v4, v[4:5]
	v_cvt_f32_f64_e32 v5, v[0:1]
	v_mad_u64_u32 v[0:1], s[2:3], s4, v37, v[6:7]
	v_add_u32_e32 v1, s5, v1
	global_store_dwordx2 v[0:1], v[4:5], off
	v_mul_f32_e32 v4, v33, v3
	v_fmac_f32_e32 v4, v32, v2
	v_mul_f32_e32 v2, v33, v2
	v_fma_f32 v2, v32, v3, -v2
	v_cvt_f64_f32_e32 v[4:5], v4
	v_cvt_f64_f32_e32 v[2:3], v2
	v_mul_f64 v[4:5], v[4:5], s[0:1]
	v_mul_f64 v[2:3], v[2:3], s[0:1]
	v_mad_u64_u32 v[0:1], s[0:1], s4, v37, v[0:1]
	v_cvt_f32_f64_e32 v4, v[4:5]
	v_cvt_f32_f64_e32 v5, v[2:3]
	v_add_u32_e32 v1, s5, v1
	global_store_dwordx2 v[0:1], v[4:5], off
.LBB0_2:
	s_endpgm
	.section	.rodata,"a",@progbits
	.p2align	6, 0x0
	.amdhsa_kernel bluestein_single_fwd_len250_dim1_sp_op_CI_CI
		.amdhsa_group_segment_fixed_size 10000
		.amdhsa_private_segment_fixed_size 0
		.amdhsa_kernarg_size 104
		.amdhsa_user_sgpr_count 2
		.amdhsa_user_sgpr_dispatch_ptr 0
		.amdhsa_user_sgpr_queue_ptr 0
		.amdhsa_user_sgpr_kernarg_segment_ptr 1
		.amdhsa_user_sgpr_dispatch_id 0
		.amdhsa_user_sgpr_kernarg_preload_length 0
		.amdhsa_user_sgpr_kernarg_preload_offset 0
		.amdhsa_user_sgpr_private_segment_size 0
		.amdhsa_uses_dynamic_stack 0
		.amdhsa_enable_private_segment 0
		.amdhsa_system_sgpr_workgroup_id_x 1
		.amdhsa_system_sgpr_workgroup_id_y 0
		.amdhsa_system_sgpr_workgroup_id_z 0
		.amdhsa_system_sgpr_workgroup_info 0
		.amdhsa_system_vgpr_workitem_id 0
		.amdhsa_next_free_vgpr 124
		.amdhsa_next_free_sgpr 20
		.amdhsa_accum_offset 124
		.amdhsa_reserve_vcc 1
		.amdhsa_float_round_mode_32 0
		.amdhsa_float_round_mode_16_64 0
		.amdhsa_float_denorm_mode_32 3
		.amdhsa_float_denorm_mode_16_64 3
		.amdhsa_dx10_clamp 1
		.amdhsa_ieee_mode 1
		.amdhsa_fp16_overflow 0
		.amdhsa_tg_split 0
		.amdhsa_exception_fp_ieee_invalid_op 0
		.amdhsa_exception_fp_denorm_src 0
		.amdhsa_exception_fp_ieee_div_zero 0
		.amdhsa_exception_fp_ieee_overflow 0
		.amdhsa_exception_fp_ieee_underflow 0
		.amdhsa_exception_fp_ieee_inexact 0
		.amdhsa_exception_int_div_zero 0
	.end_amdhsa_kernel
	.text
.Lfunc_end0:
	.size	bluestein_single_fwd_len250_dim1_sp_op_CI_CI, .Lfunc_end0-bluestein_single_fwd_len250_dim1_sp_op_CI_CI
                                        ; -- End function
	.section	.AMDGPU.csdata,"",@progbits
; Kernel info:
; codeLenInByte = 7848
; NumSgprs: 26
; NumVgprs: 124
; NumAgprs: 0
; TotalNumVgprs: 124
; ScratchSize: 0
; MemoryBound: 0
; FloatMode: 240
; IeeeMode: 1
; LDSByteSize: 10000 bytes/workgroup (compile time only)
; SGPRBlocks: 3
; VGPRBlocks: 15
; NumSGPRsForWavesPerEU: 26
; NumVGPRsForWavesPerEU: 124
; AccumOffset: 124
; Occupancy: 4
; WaveLimiterHint : 1
; COMPUTE_PGM_RSRC2:SCRATCH_EN: 0
; COMPUTE_PGM_RSRC2:USER_SGPR: 2
; COMPUTE_PGM_RSRC2:TRAP_HANDLER: 0
; COMPUTE_PGM_RSRC2:TGID_X_EN: 1
; COMPUTE_PGM_RSRC2:TGID_Y_EN: 0
; COMPUTE_PGM_RSRC2:TGID_Z_EN: 0
; COMPUTE_PGM_RSRC2:TIDIG_COMP_CNT: 0
; COMPUTE_PGM_RSRC3_GFX90A:ACCUM_OFFSET: 30
; COMPUTE_PGM_RSRC3_GFX90A:TG_SPLIT: 0
	.text
	.p2alignl 6, 3212836864
	.fill 256, 4, 3212836864
	.type	__hip_cuid_d4ed0ebf074e4202,@object ; @__hip_cuid_d4ed0ebf074e4202
	.section	.bss,"aw",@nobits
	.globl	__hip_cuid_d4ed0ebf074e4202
__hip_cuid_d4ed0ebf074e4202:
	.byte	0                               ; 0x0
	.size	__hip_cuid_d4ed0ebf074e4202, 1

	.ident	"AMD clang version 19.0.0git (https://github.com/RadeonOpenCompute/llvm-project roc-6.4.0 25133 c7fe45cf4b819c5991fe208aaa96edf142730f1d)"
	.section	".note.GNU-stack","",@progbits
	.addrsig
	.addrsig_sym __hip_cuid_d4ed0ebf074e4202
	.amdgpu_metadata
---
amdhsa.kernels:
  - .agpr_count:     0
    .args:
      - .actual_access:  read_only
        .address_space:  global
        .offset:         0
        .size:           8
        .value_kind:     global_buffer
      - .actual_access:  read_only
        .address_space:  global
        .offset:         8
        .size:           8
        .value_kind:     global_buffer
      - .actual_access:  read_only
        .address_space:  global
        .offset:         16
        .size:           8
        .value_kind:     global_buffer
      - .actual_access:  read_only
        .address_space:  global
        .offset:         24
        .size:           8
        .value_kind:     global_buffer
      - .actual_access:  read_only
        .address_space:  global
        .offset:         32
        .size:           8
        .value_kind:     global_buffer
      - .offset:         40
        .size:           8
        .value_kind:     by_value
      - .address_space:  global
        .offset:         48
        .size:           8
        .value_kind:     global_buffer
      - .address_space:  global
        .offset:         56
        .size:           8
        .value_kind:     global_buffer
      - .address_space:  global
        .offset:         64
        .size:           8
        .value_kind:     global_buffer
      - .address_space:  global
        .offset:         72
        .size:           8
        .value_kind:     global_buffer
      - .offset:         80
        .size:           4
        .value_kind:     by_value
      - .address_space:  global
        .offset:         88
        .size:           8
        .value_kind:     global_buffer
      - .address_space:  global
        .offset:         96
        .size:           8
        .value_kind:     global_buffer
    .group_segment_fixed_size: 10000
    .kernarg_segment_align: 8
    .kernarg_segment_size: 104
    .language:       OpenCL C
    .language_version:
      - 2
      - 0
    .max_flat_workgroup_size: 125
    .name:           bluestein_single_fwd_len250_dim1_sp_op_CI_CI
    .private_segment_fixed_size: 0
    .sgpr_count:     26
    .sgpr_spill_count: 0
    .symbol:         bluestein_single_fwd_len250_dim1_sp_op_CI_CI.kd
    .uniform_work_group_size: 1
    .uses_dynamic_stack: false
    .vgpr_count:     124
    .vgpr_spill_count: 0
    .wavefront_size: 64
amdhsa.target:   amdgcn-amd-amdhsa--gfx950
amdhsa.version:
  - 1
  - 2
...

	.end_amdgpu_metadata
